;; amdgpu-corpus repo=ROCm/rocFFT kind=compiled arch=gfx1030 opt=O3
	.text
	.amdgcn_target "amdgcn-amd-amdhsa--gfx1030"
	.amdhsa_code_object_version 6
	.protected	fft_rtc_back_len1632_factors_17_2_2_3_8_wgs_102_tpt_102_halfLds_half_op_CI_CI_unitstride_sbrr_dirReg ; -- Begin function fft_rtc_back_len1632_factors_17_2_2_3_8_wgs_102_tpt_102_halfLds_half_op_CI_CI_unitstride_sbrr_dirReg
	.globl	fft_rtc_back_len1632_factors_17_2_2_3_8_wgs_102_tpt_102_halfLds_half_op_CI_CI_unitstride_sbrr_dirReg
	.p2align	8
	.type	fft_rtc_back_len1632_factors_17_2_2_3_8_wgs_102_tpt_102_halfLds_half_op_CI_CI_unitstride_sbrr_dirReg,@function
fft_rtc_back_len1632_factors_17_2_2_3_8_wgs_102_tpt_102_halfLds_half_op_CI_CI_unitstride_sbrr_dirReg: ; @fft_rtc_back_len1632_factors_17_2_2_3_8_wgs_102_tpt_102_halfLds_half_op_CI_CI_unitstride_sbrr_dirReg
; %bb.0:
	s_clause 0x2
	s_load_dwordx4 s[12:15], s[4:5], 0x0
	s_load_dwordx4 s[8:11], s[4:5], 0x58
	;; [unrolled: 1-line block ×3, first 2 shown]
	v_mul_u32_u24_e32 v1, 0x283, v0
	v_mov_b32_e32 v3, 0
	v_mov_b32_e32 v7, 0
	;; [unrolled: 1-line block ×3, first 2 shown]
	v_add_nc_u32_sdwa v9, s6, v1 dst_sel:DWORD dst_unused:UNUSED_PAD src0_sel:DWORD src1_sel:WORD_1
	v_mov_b32_e32 v10, v3
	s_waitcnt lgkmcnt(0)
	v_cmp_lt_u64_e64 s0, s[14:15], 2
	s_and_b32 vcc_lo, exec_lo, s0
	s_cbranch_vccnz .LBB0_8
; %bb.1:
	s_load_dwordx2 s[0:1], s[4:5], 0x10
	v_mov_b32_e32 v7, 0
	v_mov_b32_e32 v8, 0
	s_add_u32 s2, s18, 8
	s_addc_u32 s3, s19, 0
	v_mov_b32_e32 v1, v7
	s_add_u32 s6, s16, 8
	v_mov_b32_e32 v2, v8
	s_addc_u32 s7, s17, 0
	s_mov_b64 s[22:23], 1
	s_waitcnt lgkmcnt(0)
	s_add_u32 s20, s0, 8
	s_addc_u32 s21, s1, 0
.LBB0_2:                                ; =>This Inner Loop Header: Depth=1
	s_load_dwordx2 s[24:25], s[20:21], 0x0
                                        ; implicit-def: $vgpr5_vgpr6
	s_mov_b32 s0, exec_lo
	s_waitcnt lgkmcnt(0)
	v_or_b32_e32 v4, s25, v10
	v_cmpx_ne_u64_e32 0, v[3:4]
	s_xor_b32 s1, exec_lo, s0
	s_cbranch_execz .LBB0_4
; %bb.3:                                ;   in Loop: Header=BB0_2 Depth=1
	v_cvt_f32_u32_e32 v4, s24
	v_cvt_f32_u32_e32 v5, s25
	s_sub_u32 s0, 0, s24
	s_subb_u32 s26, 0, s25
	v_fmac_f32_e32 v4, 0x4f800000, v5
	v_rcp_f32_e32 v4, v4
	v_mul_f32_e32 v4, 0x5f7ffffc, v4
	v_mul_f32_e32 v5, 0x2f800000, v4
	v_trunc_f32_e32 v5, v5
	v_fmac_f32_e32 v4, 0xcf800000, v5
	v_cvt_u32_f32_e32 v5, v5
	v_cvt_u32_f32_e32 v4, v4
	v_mul_lo_u32 v6, s0, v5
	v_mul_hi_u32 v11, s0, v4
	v_mul_lo_u32 v12, s26, v4
	v_add_nc_u32_e32 v6, v11, v6
	v_mul_lo_u32 v11, s0, v4
	v_add_nc_u32_e32 v6, v6, v12
	v_mul_hi_u32 v12, v4, v11
	v_mul_lo_u32 v13, v4, v6
	v_mul_hi_u32 v14, v4, v6
	v_mul_hi_u32 v15, v5, v11
	v_mul_lo_u32 v11, v5, v11
	v_mul_hi_u32 v16, v5, v6
	v_mul_lo_u32 v6, v5, v6
	v_add_co_u32 v12, vcc_lo, v12, v13
	v_add_co_ci_u32_e32 v13, vcc_lo, 0, v14, vcc_lo
	v_add_co_u32 v11, vcc_lo, v12, v11
	v_add_co_ci_u32_e32 v11, vcc_lo, v13, v15, vcc_lo
	v_add_co_ci_u32_e32 v12, vcc_lo, 0, v16, vcc_lo
	v_add_co_u32 v6, vcc_lo, v11, v6
	v_add_co_ci_u32_e32 v11, vcc_lo, 0, v12, vcc_lo
	v_add_co_u32 v4, vcc_lo, v4, v6
	v_add_co_ci_u32_e32 v5, vcc_lo, v5, v11, vcc_lo
	v_mul_hi_u32 v6, s0, v4
	v_mul_lo_u32 v12, s26, v4
	v_mul_lo_u32 v11, s0, v5
	v_add_nc_u32_e32 v6, v6, v11
	v_mul_lo_u32 v11, s0, v4
	v_add_nc_u32_e32 v6, v6, v12
	v_mul_hi_u32 v12, v4, v11
	v_mul_lo_u32 v13, v4, v6
	v_mul_hi_u32 v14, v4, v6
	v_mul_hi_u32 v15, v5, v11
	v_mul_lo_u32 v11, v5, v11
	v_mul_hi_u32 v16, v5, v6
	v_mul_lo_u32 v6, v5, v6
	v_add_co_u32 v12, vcc_lo, v12, v13
	v_add_co_ci_u32_e32 v13, vcc_lo, 0, v14, vcc_lo
	v_add_co_u32 v11, vcc_lo, v12, v11
	v_add_co_ci_u32_e32 v11, vcc_lo, v13, v15, vcc_lo
	v_add_co_ci_u32_e32 v12, vcc_lo, 0, v16, vcc_lo
	v_add_co_u32 v6, vcc_lo, v11, v6
	v_add_co_ci_u32_e32 v11, vcc_lo, 0, v12, vcc_lo
	v_add_co_u32 v6, vcc_lo, v4, v6
	v_add_co_ci_u32_e32 v13, vcc_lo, v5, v11, vcc_lo
	v_mul_hi_u32 v15, v9, v6
	v_mad_u64_u32 v[11:12], null, v10, v6, 0
	v_mad_u64_u32 v[4:5], null, v9, v13, 0
	;; [unrolled: 1-line block ×3, first 2 shown]
	v_add_co_u32 v4, vcc_lo, v15, v4
	v_add_co_ci_u32_e32 v5, vcc_lo, 0, v5, vcc_lo
	v_add_co_u32 v4, vcc_lo, v4, v11
	v_add_co_ci_u32_e32 v4, vcc_lo, v5, v12, vcc_lo
	v_add_co_ci_u32_e32 v5, vcc_lo, 0, v14, vcc_lo
	v_add_co_u32 v11, vcc_lo, v4, v13
	v_add_co_ci_u32_e32 v6, vcc_lo, 0, v5, vcc_lo
	v_mul_lo_u32 v12, s25, v11
	v_mad_u64_u32 v[4:5], null, s24, v11, 0
	v_mul_lo_u32 v13, s24, v6
	v_sub_co_u32 v4, vcc_lo, v9, v4
	v_add3_u32 v5, v5, v13, v12
	v_sub_nc_u32_e32 v12, v10, v5
	v_subrev_co_ci_u32_e64 v12, s0, s25, v12, vcc_lo
	v_add_co_u32 v13, s0, v11, 2
	v_add_co_ci_u32_e64 v14, s0, 0, v6, s0
	v_sub_co_u32 v15, s0, v4, s24
	v_sub_co_ci_u32_e32 v5, vcc_lo, v10, v5, vcc_lo
	v_subrev_co_ci_u32_e64 v12, s0, 0, v12, s0
	v_cmp_le_u32_e32 vcc_lo, s24, v15
	v_cmp_eq_u32_e64 s0, s25, v5
	v_cndmask_b32_e64 v15, 0, -1, vcc_lo
	v_cmp_le_u32_e32 vcc_lo, s25, v12
	v_cndmask_b32_e64 v16, 0, -1, vcc_lo
	v_cmp_le_u32_e32 vcc_lo, s24, v4
	;; [unrolled: 2-line block ×3, first 2 shown]
	v_cndmask_b32_e64 v17, 0, -1, vcc_lo
	v_cmp_eq_u32_e32 vcc_lo, s25, v12
	v_cndmask_b32_e64 v4, v17, v4, s0
	v_cndmask_b32_e32 v12, v16, v15, vcc_lo
	v_add_co_u32 v15, vcc_lo, v11, 1
	v_add_co_ci_u32_e32 v16, vcc_lo, 0, v6, vcc_lo
	v_cmp_ne_u32_e32 vcc_lo, 0, v12
	v_cndmask_b32_e32 v5, v16, v14, vcc_lo
	v_cndmask_b32_e32 v12, v15, v13, vcc_lo
	v_cmp_ne_u32_e32 vcc_lo, 0, v4
	v_cndmask_b32_e32 v6, v6, v5, vcc_lo
	v_cndmask_b32_e32 v5, v11, v12, vcc_lo
.LBB0_4:                                ;   in Loop: Header=BB0_2 Depth=1
	s_andn2_saveexec_b32 s0, s1
	s_cbranch_execz .LBB0_6
; %bb.5:                                ;   in Loop: Header=BB0_2 Depth=1
	v_cvt_f32_u32_e32 v4, s24
	s_sub_i32 s1, 0, s24
	v_rcp_iflag_f32_e32 v4, v4
	v_mul_f32_e32 v4, 0x4f7ffffe, v4
	v_cvt_u32_f32_e32 v4, v4
	v_mul_lo_u32 v5, s1, v4
	v_mul_hi_u32 v5, v4, v5
	v_add_nc_u32_e32 v4, v4, v5
	v_mul_hi_u32 v4, v9, v4
	v_mul_lo_u32 v5, v4, s24
	v_add_nc_u32_e32 v6, 1, v4
	v_sub_nc_u32_e32 v5, v9, v5
	v_subrev_nc_u32_e32 v11, s24, v5
	v_cmp_le_u32_e32 vcc_lo, s24, v5
	v_cndmask_b32_e32 v5, v5, v11, vcc_lo
	v_cndmask_b32_e32 v4, v4, v6, vcc_lo
	v_cmp_le_u32_e32 vcc_lo, s24, v5
	v_add_nc_u32_e32 v6, 1, v4
	v_cndmask_b32_e32 v5, v4, v6, vcc_lo
	v_mov_b32_e32 v6, v3
.LBB0_6:                                ;   in Loop: Header=BB0_2 Depth=1
	s_or_b32 exec_lo, exec_lo, s0
	v_mul_lo_u32 v4, v6, s24
	v_mul_lo_u32 v13, v5, s25
	s_load_dwordx2 s[0:1], s[6:7], 0x0
	v_mad_u64_u32 v[11:12], null, v5, s24, 0
	s_load_dwordx2 s[24:25], s[2:3], 0x0
	s_add_u32 s22, s22, 1
	s_addc_u32 s23, s23, 0
	s_add_u32 s2, s2, 8
	s_addc_u32 s3, s3, 0
	s_add_u32 s6, s6, 8
	v_add3_u32 v4, v12, v13, v4
	v_sub_co_u32 v9, vcc_lo, v9, v11
	s_addc_u32 s7, s7, 0
	s_add_u32 s20, s20, 8
	v_sub_co_ci_u32_e32 v4, vcc_lo, v10, v4, vcc_lo
	s_addc_u32 s21, s21, 0
	s_waitcnt lgkmcnt(0)
	v_mul_lo_u32 v10, s0, v4
	v_mul_lo_u32 v11, s1, v9
	v_mad_u64_u32 v[7:8], null, s0, v9, v[7:8]
	v_mul_lo_u32 v4, s24, v4
	v_mul_lo_u32 v12, s25, v9
	v_mad_u64_u32 v[1:2], null, s24, v9, v[1:2]
	v_cmp_ge_u64_e64 s0, s[22:23], s[14:15]
	v_add3_u32 v8, v11, v8, v10
	v_add3_u32 v2, v12, v2, v4
	s_and_b32 vcc_lo, exec_lo, s0
	s_cbranch_vccnz .LBB0_9
; %bb.7:                                ;   in Loop: Header=BB0_2 Depth=1
	v_mov_b32_e32 v10, v6
	v_mov_b32_e32 v9, v5
	s_branch .LBB0_2
.LBB0_8:
	v_mov_b32_e32 v1, v7
	v_mov_b32_e32 v5, v9
	;; [unrolled: 1-line block ×4, first 2 shown]
.LBB0_9:
	s_load_dwordx2 s[0:1], s[4:5], 0x28
	v_mul_hi_u32 v3, 0x2828283, v0
	s_lshl_b64 s[4:5], s[14:15], 3
	v_mov_b32_e32 v32, 0
	v_mov_b32_e32 v41, 0
	s_add_u32 s2, s18, s4
	s_addc_u32 s3, s19, s5
                                        ; implicit-def: $vgpr40
                                        ; implicit-def: $vgpr27
                                        ; implicit-def: $vgpr39
                                        ; implicit-def: $vgpr28
                                        ; implicit-def: $vgpr38
                                        ; implicit-def: $vgpr18
                                        ; implicit-def: $vgpr37
                                        ; implicit-def: $vgpr19
                                        ; implicit-def: $vgpr35
                                        ; implicit-def: $vgpr17
                                        ; implicit-def: $vgpr36
                                        ; implicit-def: $vgpr16
                                        ; implicit-def: $vgpr34
                                        ; implicit-def: $vgpr14
                                        ; implicit-def: $vgpr25
                                        ; implicit-def: $vgpr4
                                        ; implicit-def: $vgpr24
                                        ; implicit-def: $vgpr15
                                        ; implicit-def: $vgpr23
                                        ; implicit-def: $vgpr20
                                        ; implicit-def: $vgpr22
                                        ; implicit-def: $vgpr26
                                        ; implicit-def: $vgpr12
                                        ; implicit-def: $vgpr21
                                        ; implicit-def: $vgpr13
                                        ; implicit-def: $vgpr29
                                        ; implicit-def: $vgpr11
                                        ; implicit-def: $vgpr30
                                        ; implicit-def: $vgpr10
                                        ; implicit-def: $vgpr31
                                        ; implicit-def: $vgpr9
                                        ; implicit-def: $vgpr33
	v_mul_u32_u24_e32 v3, 0x66, v3
	v_sub_nc_u32_e32 v3, v0, v3
	s_waitcnt lgkmcnt(0)
	v_cmp_gt_u64_e32 vcc_lo, s[0:1], v[5:6]
	v_cmp_gt_u32_e64 s0, 0x60, v3
	s_and_b32 s1, vcc_lo, s0
	s_and_saveexec_b32 s6, s1
	s_cbranch_execz .LBB0_11
; %bb.10:
	s_add_u32 s4, s16, s4
	s_addc_u32 s5, s17, s5
	v_mov_b32_e32 v4, 0
	s_load_dwordx2 s[4:5], s[4:5], 0x0
	v_lshlrev_b64 v[7:8], 2, v[7:8]
	v_or_b32_e32 v13, 0x480, v3
	v_or_b32_e32 v15, 0x600, v3
	v_mov_b32_e32 v12, v4
	v_lshlrev_b64 v[17:18], 2, v[3:4]
	v_mov_b32_e32 v14, v4
	v_mov_b32_e32 v16, v4
	s_waitcnt lgkmcnt(0)
	v_mul_lo_u32 v0, s5, v5
	v_mul_lo_u32 v11, s4, v6
	v_mad_u64_u32 v[9:10], null, s4, v5, 0
	v_add3_u32 v10, v10, v11, v0
	v_or_b32_e32 v11, 0x300, v3
	v_lshlrev_b64 v[9:10], 2, v[9:10]
	v_lshlrev_b64 v[11:12], 2, v[11:12]
	v_add_co_u32 v0, s1, s8, v9
	v_add_co_ci_u32_e64 v4, s1, s9, v10, s1
	v_lshlrev_b64 v[9:10], 2, v[13:14]
	v_add_co_u32 v0, s1, v0, v7
	v_add_co_ci_u32_e64 v4, s1, v4, v8, s1
	;; [unrolled: 3-line block ×3, first 2 shown]
	v_add_co_u32 v11, s1, v0, v11
	v_add_co_ci_u32_e64 v12, s1, v4, v12, s1
	v_add_co_u32 v9, s1, v0, v9
	v_add_co_ci_u32_e64 v10, s1, v4, v10, s1
	;; [unrolled: 2-line block ×5, first 2 shown]
	s_clause 0x10
	global_load_dword v21, v[9:10], off
	global_load_dword v41, v[13:14], off
	global_load_dword v27, v[13:14], off offset:384
	global_load_dword v28, v[13:14], off offset:768
	;; [unrolled: 1-line block ×8, first 2 shown]
	global_load_dword v4, v[11:12], off
	global_load_dword v26, v[24:25], off offset:128
	global_load_dword v29, v[24:25], off offset:896
	;; [unrolled: 1-line block ×5, first 2 shown]
	global_load_dword v33, v[7:8], off
	s_waitcnt vmcnt(16)
	v_lshrrev_b32_e32 v12, 16, v21
	s_waitcnt vmcnt(15)
	v_lshrrev_b32_e32 v32, 16, v41
	s_waitcnt vmcnt(14)
	v_lshrrev_b32_e32 v40, 16, v27
	s_waitcnt vmcnt(13)
	v_lshrrev_b32_e32 v39, 16, v28
	s_waitcnt vmcnt(12)
	v_lshrrev_b32_e32 v38, 16, v18
	s_waitcnt vmcnt(11)
	v_lshrrev_b32_e32 v37, 16, v19
	s_waitcnt vmcnt(10)
	v_lshrrev_b32_e32 v35, 16, v17
	s_waitcnt vmcnt(9)
	v_lshrrev_b32_e32 v36, 16, v16
	s_waitcnt vmcnt(8)
	v_lshrrev_b32_e32 v34, 16, v14
	s_waitcnt vmcnt(7)
	v_lshrrev_b32_e32 v24, 16, v15
	s_waitcnt vmcnt(6)
	v_lshrrev_b32_e32 v25, 16, v4
	s_waitcnt vmcnt(5)
	v_lshrrev_b32_e32 v22, 16, v26
	s_waitcnt vmcnt(4)
	v_lshrrev_b32_e32 v13, 16, v29
	s_waitcnt vmcnt(3)
	v_lshrrev_b32_e32 v11, 16, v30
	s_waitcnt vmcnt(2)
	v_lshrrev_b32_e32 v10, 16, v31
	s_waitcnt vmcnt(1)
	v_lshrrev_b32_e32 v23, 16, v20
	s_waitcnt vmcnt(0)
	v_lshrrev_b32_e32 v9, 16, v33
.LBB0_11:
	s_or_b32 exec_lo, exec_lo, s6
	v_sub_f16_e32 v46, v40, v9
	v_add_f16_e32 v7, v27, v33
	v_sub_f16_e32 v43, v39, v10
	v_add_f16_e32 v8, v28, v31
	v_sub_f16_e32 v44, v38, v11
	v_mul_f16_e32 v61, 0xb5c8, v46
	v_add_f16_e32 v42, v18, v30
	v_mul_f16_e32 v62, 0xb964, v43
	v_sub_f16_e32 v47, v37, v13
	v_mul_f16_e32 v63, 0xbb29, v44
	v_fma_f16 v0, v7, 0x3b76, -v61
	v_add_f16_e32 v45, v19, v29
	v_fma_f16 v48, v8, 0x39e9, -v62
	v_sub_f16_e32 v49, v35, v12
	v_mul_f16_e32 v58, 0xbbf7, v47
	v_add_f16_e32 v0, v41, v0
	v_fma_f16 v50, v42, 0x3722, -v63
	v_sub_f16_e32 v51, v36, v22
	v_mul_f16_e32 v59, 0xbbb2, v49
	v_fma_f16 v52, v45, 0x2de8, -v58
	v_add_f16_e32 v0, v48, v0
	v_add_f16_e32 v48, v17, v21
	v_sub_f16_e32 v54, v34, v23
	v_mul_f16_e32 v60, 0xba62, v51
	v_add_f16_e32 v53, v14, v20
	v_add_f16_e32 v0, v50, v0
	;; [unrolled: 1-line block ×3, first 2 shown]
	v_fma_f16 v55, v48, 0xb461, -v59
	v_mul_f16_e32 v57, 0xb836, v54
	v_add_f16_e32 v0, v52, v0
	v_fma_f16 v56, v50, 0xb8d2, -v60
	v_sub_f16_e32 v52, v25, v24
	v_fma_f16 v64, v53, 0xbacd, -v57
	v_add_f16_e32 v0, v55, v0
	v_add_f16_e32 v55, v4, v15
	;; [unrolled: 1-line block ×3, first 2 shown]
	v_mul_f16_e32 v56, 0xb1e1, v52
	v_add_f16_e32 v0, v64, v0
	v_fma_f16 v64, v55, 0xbbdd, -v56
	v_add_f16_e32 v0, v64, v0
	s_and_saveexec_b32 s1, s0
	s_cbranch_execz .LBB0_13
; %bb.12:
	v_mul_f16_e32 v64, 0xbbdd, v7
	v_mul_f16_e32 v68, 0x3b76, v8
	;; [unrolled: 1-line block ×5, first 2 shown]
	v_fmamk_f16 v69, v46, 0xb1e1, v64
	v_fmamk_f16 v73, v43, 0x35c8, v68
	;; [unrolled: 1-line block ×5, first 2 shown]
	v_add_f16_e32 v69, v41, v69
	v_pk_mul_f16 v85, 0x372239e9, v7 op_sel_hi:[1,0]
	v_mul_f16_e32 v87, 0xb461, v53
	v_pk_mul_f16 v89, 0xb8d22de8, v8 op_sel_hi:[1,0]
	v_mul_f16_e32 v90, 0x2de8, v55
	v_add_f16_e32 v69, v73, v69
	v_fmamk_f16 v88, v46, 0x3964, v85
	v_pk_mul_f16 v92, 0xbbddb8d2, v42 op_sel_hi:[1,0]
	v_fmamk_f16 v91, v43, 0x3bf7, v89
	v_mul_f16_e32 v65, 0x3b76, v7
	v_add_f16_e32 v69, v77, v69
	v_add_f16_e32 v88, v41, v88
	v_pk_mul_f16 v94, 0xb461bbdd, v45 op_sel_hi:[1,0]
	v_mul_f16_e32 v66, 0x39e9, v8
	v_add_f16_e32 v61, v61, v65
	v_add_f16_e32 v69, v80, v69
	v_mul_f16_e32 v80, 0x3722, v50
	v_add_f16_e32 v88, v91, v88
	v_fmamk_f16 v91, v44, 0x3a62, v92
	v_mul_f16_e32 v67, 0x3722, v42
	v_add_f16_e32 v69, v83, v69
	v_fmamk_f16 v83, v51, 0x3b29, v80
	v_add_f16_e32 v61, v41, v61
	v_add_f16_e32 v62, v62, v66
	v_mul_f16_e32 v70, 0x2de8, v45
	v_mul_f16_e32 v71, 0xb461, v48
	v_add_f16_e32 v69, v83, v69
	v_fmamk_f16 v83, v54, 0xbbb2, v87
	v_add_f16_e32 v61, v62, v61
	v_add_f16_e32 v62, v63, v67
	;; [unrolled: 1-line block ×3, first 2 shown]
	v_mul_f16_e32 v74, 0xb8d2, v50
	v_add_f16_e32 v69, v83, v69
	v_fmamk_f16 v83, v52, 0x3bf7, v90
	v_add_f16_e32 v61, v62, v61
	v_add_f16_e32 v59, v59, v71
	;; [unrolled: 1-line block ×3, first 2 shown]
	v_pk_fma_f16 v85, 0xbb29b964, v46, v85 op_sel_hi:[1,0,1]
	v_add_f16_e32 v65, v83, v69
	v_add_f16_e32 v69, v91, v88
	v_fmamk_f16 v83, v47, 0x31e1, v94
	v_pk_mul_f16 v88, 0x39e9bacd, v48 op_sel_hi:[1,0]
	v_add_f16_e32 v58, v58, v61
	v_mul_f16_e32 v75, 0xbacd, v53
	v_mul_f16_e32 v73, 0xbbdd, v55
	v_add_f16_e32 v69, v83, v69
	v_fmamk_f16 v83, v49, 0xb836, v88
	v_add_f16_e32 v58, v59, v58
	v_add_f16_e32 v57, v57, v75
	;; [unrolled: 1-line block ×3, first 2 shown]
	v_pk_fma_f16 v88, 0x39643836, v49, v88 op_sel_hi:[1,0,1]
	v_add_f16_e32 v67, v83, v69
	v_add_f16_e32 v83, v41, v27
	;; [unrolled: 1-line block ×3, first 2 shown]
	v_pk_mul_f16 v91, 0x3b76b461, v50 op_sel_hi:[1,0]
	v_mul_f16_e32 v78, 0xb1e1, v46
	v_pk_mul_f16 v66, 0xbacdb8d2, v7 op_sel_hi:[1,0]
	v_add_f16_e32 v83, v83, v28
	v_add_f16_e32 v57, v57, v58
	v_pk_mul_f16 v63, 0xb836ba62, v46 op_sel_hi:[1,0]
	v_fmamk_f16 v69, v51, 0xbbb2, v91
	v_pk_mul_f16 v62, 0x2de83722, v53 op_sel_hi:[1,0]
	v_add_f16_e32 v83, v83, v18
	v_add_f16_e32 v96, v56, v57
	v_pk_mul_f16 v56, 0xbacdbbdd, v8 op_sel_hi:[1,0]
	v_mul_f16_e32 v77, 0x35c8, v43
	v_pk_mul_f16 v70, 0x3722b461, v8 op_sel_hi:[1,0]
	v_add_f16_e32 v83, v83, v19
	v_add_f16_e32 v67, v69, v67
	v_pk_fma_f16 v56, 0x3836b1e1, v43, v56 op_sel_hi:[1,0,1]
	v_fmamk_f16 v69, v54, 0xbb29, v62
	v_pk_mul_f16 v61, 0x3b293bb2, v43 op_sel_hi:[1,0]
	v_add_f16_e32 v83, v83, v17
	v_pk_mul_f16 v71, 0xbacd3b76, v55 op_sel_hi:[1,0]
	v_bfi_b32 v64, 0xffff, v64, v66
	v_pk_fma_f16 v66, 0xb836ba62, v46, v66 op_sel_hi:[1,0,1]
	v_bfi_b32 v63, 0xffff, v78, v63
	v_add_f16_e32 v60, v83, v16
	v_pk_add_f16 v83, v41, v85 op_sel_hi:[0,1]
	v_pk_fma_f16 v85, 0xba62bbf7, v43, v89 op_sel_hi:[1,0,1]
	v_mul_f16_e32 v81, 0xb836, v44
	v_add_f16_e32 v67, v69, v67
	v_add_f16_e32 v60, v60, v14
	v_pk_mul_f16 v69, 0x2de83b76, v42 op_sel_hi:[1,0]
	v_pk_add_f16 v83, v85, v83
	v_pk_fma_f16 v85, 0x31e1ba62, v44, v92 op_sel_hi:[1,0,1]
	v_fmamk_f16 v59, v52, 0xb5c8, v71
	v_add_f16_e32 v60, v60, v4
	v_pk_mul_f16 v74, 0xbbf7b5c8, v44 op_sel_hi:[1,0]
	v_pk_add_f16 v63, v64, v63 neg_lo:[0,1] neg_hi:[0,1]
	v_pk_add_f16 v83, v85, v83
	v_pk_fma_f16 v85, 0x3bb2b1e1, v47, v94 op_sel_hi:[1,0,1]
	v_add_f16_e32 v60, v60, v15
	v_bfi_b32 v61, 0xffff, v77, v61
	v_mul_f16_e32 v82, 0x3964, v47
	v_add_f16_e32 v59, v59, v67
	v_pk_add_f16 v83, v85, v83
	v_pk_mul_f16 v85, 0xb4612de8, v7 op_sel_hi:[1,0]
	v_add_f16_e32 v57, v60, v20
	v_pk_mul_f16 v67, 0xb8d2bacd, v45 op_sel_hi:[1,0]
	v_pk_mul_f16 v89, 0x3a62b836, v47 op_sel_hi:[1,0]
	v_pk_add_f16 v83, v88, v83
	v_pk_fma_f16 v60, 0xbbb2bbf7, v46, v85 op_sel_hi:[1,0,1]
	v_add_f16_e32 v57, v57, v26
	v_pk_mul_f16 v88, 0x39e9b461, v42 op_sel_hi:[1,0]
	v_pk_fma_f16 v64, 0x3b293bb2, v43, v70 op_sel_hi:[1,0,1]
	v_pk_add_f16 v63, v41, v63 op_sel_hi:[0,1]
	v_pk_add_f16 v60, v41, v60 op_sel_hi:[0,1]
	v_add_f16_e32 v57, v57, v21
	v_mul_f16_e32 v84, 0xba62, v49
	v_pk_mul_f16 v75, 0x3b762de8, v48 op_sel_hi:[1,0]
	v_pk_mul_f16 v92, 0xb5c83bf7, v49 op_sel_hi:[1,0]
	v_pk_add_f16 v56, v56, v60
	v_pk_fma_f16 v60, 0x39643bb2, v44, v88 op_sel_hi:[1,0,1]
	v_pk_mul_f16 v88, 0x37223b76, v45 op_sel_hi:[1,0]
	v_add_f16_e32 v57, v57, v29
	v_mul_f16_e32 v86, 0x3b29, v51
	v_pk_mul_f16 v58, 0xbbdd39e9, v50 op_sel_hi:[1,0]
	v_pk_add_f16 v56, v60, v56
	v_pk_fma_f16 v88, 0xbb2935c8, v47, v88 op_sel_hi:[1,0,1]
	v_add_f16_e32 v57, v57, v30
	v_pk_mul_f16 v94, 0xb1e1b964, v51 op_sel_hi:[1,0]
	v_pk_fma_f16 v85, 0xb5c83bb2, v51, v91 op_sel_hi:[1,0,1]
	v_mul_f16_e32 v93, 0xbbb2, v54
	v_pk_add_f16 v88, v88, v56
	v_add_f16_e32 v56, v57, v31
	v_pk_add_f16 v57, v41, v66 op_sel_hi:[0,1]
	v_bfi_b32 v66, 0xffff, v68, v70
	v_pk_mul_f16 v73, 0x39e9bbdd, v53 op_sel_hi:[1,0]
	v_pk_add_f16 v83, v85, v83
	v_add_f16_e32 v77, v56, v33
	v_pk_fma_f16 v56, 0xb83635c8, v52, v71 op_sel_hi:[1,0,1]
	v_pk_add_f16 v61, v66, v61 neg_lo:[0,1] neg_hi:[0,1]
	v_bfi_b32 v66, 0xffff, v72, v69
	v_bfi_b32 v71, 0xffff, v81, v74
	v_pk_add_f16 v57, v64, v57
	v_pk_fma_f16 v69, 0xbbf7b5c8, v44, v69 op_sel_hi:[1,0,1]
	v_pk_add_f16 v61, v61, v63
	v_pk_mul_f16 v85, 0x3964b1e1, v54 op_sel_hi:[1,0]
	v_pk_add_f16 v63, v66, v71 neg_lo:[0,1] neg_hi:[0,1]
	v_bfi_b32 v66, 0xffff, v76, v67
	v_bfi_b32 v71, 0xffff, v82, v89
	v_pk_add_f16 v57, v69, v57
	v_pk_fma_f16 v67, 0x3a62b836, v47, v67 op_sel_hi:[1,0,1]
	v_pk_add_f16 v61, v63, v61
	v_bfi_b32 v69, 0xffff, v84, v92
	v_pk_add_f16 v63, v66, v71 neg_lo:[0,1] neg_hi:[0,1]
	v_bfi_b32 v66, 0xffff, v79, v75
	v_pk_add_f16 v57, v67, v57
	v_pk_fma_f16 v67, 0xb5c83bf7, v49, v75 op_sel_hi:[1,0,1]
	v_pk_fma_f16 v62, 0xbbf73b29, v54, v62 op_sel_hi:[1,0,1]
	v_pk_add_f16 v61, v63, v61
	v_pk_add_f16 v63, v66, v69 neg_lo:[0,1] neg_hi:[0,1]
	v_bfi_b32 v66, 0xffff, v80, v58
	v_bfi_b32 v69, 0xffff, v86, v94
	v_pk_add_f16 v57, v67, v57
	v_pk_fma_f16 v58, 0xb1e1b964, v51, v58 op_sel_hi:[1,0,1]
	v_pk_add_f16 v61, v63, v61
	v_bfi_b32 v67, 0xffff, v93, v85
	v_pk_add_f16 v63, v66, v69 neg_lo:[0,1] neg_hi:[0,1]
	v_bfi_b32 v66, 0xffff, v87, v73
	v_pk_add_f16 v57, v58, v57
	v_pk_fma_f16 v58, 0x3964b1e1, v54, v73 op_sel_hi:[1,0,1]
	v_pk_add_f16 v62, v62, v83
	v_pk_add_f16 v61, v63, v61
	v_pk_add_f16 v63, v66, v67 neg_lo:[0,1] neg_hi:[0,1]
	v_pk_mul_f16 v67, 0x3bb23a62, v46 op_sel_hi:[1,0]
	v_pk_mul_f16 v46, 0x3b293bf7, v46 op_sel_hi:[1,0]
	v_pk_add_f16 v58, v58, v57
	v_pk_mul_f16 v78, 0xbbdd3722, v48 op_sel_hi:[1,0]
	v_pk_add_f16 v57, v63, v61
	v_pk_fma_f16 v63, 0xb461b8d2, v7, v67 op_sel_hi:[1,0,1]
	v_pk_mul_f16 v67, 0xb836bbb2, v43 op_sel_hi:[1,0]
	v_pk_fma_f16 v7, 0x37222de8, v7, v46 op_sel_hi:[1,0,1]
	v_pk_mul_f16 v43, 0x3a6231e1, v43 op_sel_hi:[1,0]
	v_pk_mul_f16 v91, 0x2de8bacd, v50 op_sel_hi:[1,0]
	v_pk_add_f16 v46, v41, v63 op_sel_hi:[0,1]
	v_pk_fma_f16 v63, 0xbacdb461, v8, v67 op_sel_hi:[1,0,1]
	v_pk_mul_f16 v67, 0xb96435c8, v44 op_sel_hi:[1,0]
	v_pk_add_f16 v7, v41, v7 op_sel_hi:[0,1]
	v_pk_fma_f16 v8, 0xb8d2bbdd, v8, v43 op_sel_hi:[1,0,1]
	v_pk_mul_f16 v41, 0xb1e1bbb2, v44 op_sel_hi:[1,0]
	v_pk_add_f16 v43, v63, v46
	v_pk_fma_f16 v44, 0x39e93b76, v42, v67 op_sel_hi:[1,0,1]
	v_pk_mul_f16 v46, 0x3b293836, v47 op_sel_hi:[1,0]
	v_pk_add_f16 v7, v8, v7
	;; [unrolled: 3-line block ×7, first 2 shown]
	v_pk_fma_f16 v62, 0xb1e1bb29, v49, v78 op_sel_hi:[1,0,1]
	v_mul_f16_e32 v95, 0x3bf7, v52
	v_pk_mul_f16 v83, 0xb4613722, v55 op_sel_hi:[1,0]
	v_pk_mul_f16 v60, 0xbbb23b29, v52 op_sel_hi:[1,0]
	v_pk_add_f16 v42, v43, v42
	v_pk_fma_f16 v43, 0x2de839e9, v50, v44 op_sel_hi:[1,0,1]
	v_pk_mul_f16 v44, 0x35c831e1, v54 op_sel_hi:[1,0]
	v_pk_add_f16 v7, v8, v7
	v_pk_fma_f16 v8, 0x3b76bacd, v50, v41 op_sel_hi:[1,0,1]
	v_pk_mul_f16 v41, 0x3bf7ba62, v54 op_sel_hi:[1,0]
	v_pk_mul_f16 v68, 0x3b76b8d2, v53 op_sel_hi:[1,0]
	v_pk_add_f16 v62, v62, v88
	v_pk_fma_f16 v71, 0x3bf7b836, v51, v91 op_sel_hi:[1,0,1]
	v_bfi_b32 v61, 0xffff, v90, v83
	v_bfi_b32 v60, 0xffff, v95, v60
	v_pk_add_f16 v42, v43, v42
	v_pk_fma_f16 v43, 0x3b76bbdd, v53, v44 op_sel_hi:[1,0,1]
	v_pk_mul_f16 v44, 0x3a62bb29, v52 op_sel_hi:[1,0]
	v_pk_add_f16 v7, v8, v7
	v_pk_fma_f16 v8, 0x2de8b8d2, v53, v41 op_sel_hi:[1,0,1]
	v_pk_mul_f16 v41, 0x3836b964, v52 op_sel_hi:[1,0]
	v_pk_mul_f16 v70, 0xb8d239e9, v55 op_sel_hi:[1,0]
	v_pk_add_f16 v62, v71, v62
	v_pk_fma_f16 v68, 0xb5c83a62, v54, v68 op_sel_hi:[1,0,1]
	v_pk_add_f16 v45, v61, v60 neg_lo:[0,1] neg_hi:[0,1]
	v_pk_add_f16 v42, v43, v42
	v_pk_fma_f16 v43, 0xb8d23722, v55, v44 op_sel_hi:[1,0,1]
	v_pk_add_f16 v7, v8, v7
	v_pk_fma_f16 v8, 0xbacd39e9, v55, v41 op_sel_hi:[1,0,1]
	;; [unrolled: 2-line block ×3, first 2 shown]
	v_pk_fma_f16 v41, 0xbbb23b29, v52, v83 op_sel_hi:[1,0,1]
	v_pk_add_f16 v44, v45, v57
	v_pk_add_f16 v43, v43, v42
	v_pk_add_f16 v7, v8, v7
	v_mad_u32_u24 v64, v3, 34, 0
	v_pk_add_f16 v57, v66, v62
	v_pk_add_f16 v58, v41, v58
	v_pack_b32_f16 v55, v77, v96
	v_alignbit_b32 v42, v43, v44, 16
	v_pack_b32_f16 v41, v65, v44
	v_alignbit_b32 v44, v59, v7, 16
	v_alignbit_b32 v43, v7, v43, 16
	ds_write_b128 v64, v[55:58]
	ds_write_b128 v64, v[41:44] offset:16
	ds_write_b16 v64, v0 offset:32
.LBB0_13:
	s_or_b32 exec_lo, exec_lo, s1
	v_sub_f16_e32 v49, v27, v33
	v_add_f16_e32 v50, v40, v9
	v_sub_f16_e32 v48, v28, v31
	v_add_f16_e32 v47, v39, v10
	v_sub_f16_e32 v54, v18, v30
	v_pk_mul_f16 v8, 0xb964b5c8, v49 op_sel_hi:[1,0]
	v_add_f16_e32 v46, v38, v11
	v_pk_mul_f16 v42, 0xbbf7b964, v48 op_sel_hi:[1,0]
	v_sub_f16_e32 v51, v19, v29
	v_sub_f16_e32 v57, v17, v21
	v_pk_fma_f16 v7, 0x39e93b76, v50, v8 op_sel_hi:[1,0,1]
	v_pk_mul_f16 v43, 0xba62bb29, v54 op_sel_hi:[1,0]
	v_pk_fma_f16 v17, 0x2de839e9, v47, v42 op_sel_hi:[1,0,1]
	v_add_f16_e32 v52, v37, v13
	v_sub_f16_e32 v59, v16, v26
	v_pk_add_f16 v7, v32, v7 op_sel_hi:[0,1]
	v_pk_mul_f16 v44, 0xb1e1bbf7, v51 op_sel_hi:[1,0]
	v_pk_fma_f16 v16, 0xb8d23722, v46, v43 op_sel_hi:[1,0,1]
	v_add_f16_e32 v56, v35, v12
	v_sub_f16_e32 v61, v14, v20
	v_pk_add_f16 v7, v17, v7
	v_pk_mul_f16 v45, 0x3836bbb2, v57 op_sel_hi:[1,0]
	v_pk_fma_f16 v14, 0xbbdd2de8, v52, v44 op_sel_hi:[1,0,1]
	v_sub_f16_e32 v62, v4, v15
	s_waitcnt lgkmcnt(0)
	v_pk_add_f16 v7, v16, v7
	v_pk_fma_f16 v4, 0xbacdb461, v56, v45 op_sel_hi:[1,0,1]
	s_barrier
	buffer_gl0_inv
	v_add_f16_e32 v58, v36, v22
	v_pk_add_f16 v14, v14, v7
	v_lshl_add_u32 v7, v3, 1, 0
	v_pk_mul_f16 v53, 0x3bb2ba62, v59 op_sel_hi:[1,0]
	v_add_f16_e32 v60, v34, v23
	v_pk_mul_f16 v55, 0x3b29b836, v61 op_sel_hi:[1,0]
	v_pk_add_f16 v4, v4, v14
	ds_read_u16 v21, v7
	ds_read_u16 v14, v7 offset:204
	ds_read_u16 v15, v7 offset:408
	;; [unrolled: 1-line block ×15, first 2 shown]
	v_pk_fma_f16 v63, 0xb461b8d2, v58, v53 op_sel_hi:[1,0,1]
	v_add_f16_e32 v64, v25, v24
	v_pk_fma_f16 v65, 0x3722bacd, v60, v55 op_sel_hi:[1,0,1]
	s_waitcnt lgkmcnt(0)
	s_barrier
	v_pk_add_f16 v4, v63, v4
	v_pk_mul_f16 v63, 0x35c8b1e1, v62 op_sel_hi:[1,0]
	buffer_gl0_inv
	v_pk_add_f16 v4, v65, v4
	v_pk_fma_f16 v65, 0x3b76bbdd, v64, v63 op_sel_hi:[1,0,1]
	v_pk_add_f16 v4, v65, v4
	s_and_saveexec_b32 s1, s0
	s_cbranch_execz .LBB0_15
; %bb.14:
	v_add_f16_e32 v40, v32, v40
	v_pack_b32_f16 v65, v50, v50
	v_pk_mul_f16 v50, 0x39e93b76, v50 op_sel_hi:[1,0]
	v_perm_b32 v32, v32, v32, 0x5040100
	v_pack_b32_f16 v49, v49, v49
	v_add_f16_e32 v39, v40, v39
	v_pack_b32_f16 v40, v47, v47
	v_pk_mul_f16 v47, 0x2de839e9, v47 op_sel_hi:[1,0]
	v_pk_add_f16 v8, v50, v8 neg_lo:[0,1] neg_hi:[0,1]
	v_pack_b32_f16 v48, v48, v48
	v_add_f16_e32 v38, v39, v38
	v_pk_mul_f16 v39, 0xb8d23722, v46 op_sel_hi:[1,0]
	v_pk_add_f16 v42, v47, v42 neg_lo:[0,1] neg_hi:[0,1]
	v_pk_add_f16 v8, v32, v8
	v_pack_b32_f16 v66, v46, v46
	v_add_f16_e32 v37, v38, v37
	v_pack_b32_f16 v38, v51, v51
	v_pack_b32_f16 v51, v56, v56
	v_pk_mul_f16 v56, 0xbacdb461, v56 op_sel_hi:[1,0]
	v_pack_b32_f16 v46, v54, v54
	v_add_f16_e32 v35, v37, v35
	v_pack_b32_f16 v54, v52, v52
	v_pk_mul_f16 v52, 0xbbdd2de8, v52 op_sel_hi:[1,0]
	v_pk_add_f16 v39, v39, v43 neg_lo:[0,1] neg_hi:[0,1]
	v_pk_add_f16 v43, v56, v45 neg_lo:[0,1] neg_hi:[0,1]
	v_add_f16_e32 v35, v35, v36
	v_pk_mul_f16 v45, 0xbbf7bb29, v49
	v_pk_add_f16 v8, v42, v8
	v_pack_b32_f16 v37, v58, v58
	v_pk_mul_f16 v58, 0xb461b8d2, v58 op_sel_hi:[1,0]
	v_add_f16_e32 v34, v35, v34
	v_pk_fma_f16 v47, 0x2de83722, v65, v45 neg_lo:[0,0,1] neg_hi:[0,0,1]
	v_pk_add_f16 v8, v39, v8
	v_pk_mul_f16 v42, 0x3bb231e1, v46
	v_pack_b32_f16 v57, v57, v57
	v_add_f16_e32 v25, v34, v25
	v_pk_add_f16 v34, v52, v44 neg_lo:[0,1] neg_hi:[0,1]
	v_pk_add_f16 v47, v32, v47
	v_pk_mul_f16 v36, 0x3722bacd, v60 op_sel_hi:[1,0]
	v_pk_add_f16 v44, v58, v53 neg_lo:[0,1] neg_hi:[0,1]
	v_add_f16_e32 v24, v25, v24
	v_pk_add_f16 v8, v34, v8
	v_pk_fma_f16 v34, 0xb461bbdd, v66, v42 neg_lo:[0,0,1] neg_hi:[0,0,1]
	v_pack_b32_f16 v59, v59, v59
	v_pack_b32_f16 v67, v60, v60
	v_add_f16_e32 v23, v24, v23
	v_pk_mul_f16 v24, 0xb1e1ba62, v48
	v_pk_add_f16 v8, v43, v8
	v_pack_b32_f16 v60, v61, v61
	v_pack_b32_f16 v61, v64, v64
	v_add_f16_e32 v22, v23, v22
	v_pk_fma_f16 v39, 0xbbddb8d2, v40, v24 neg_lo:[0,0,1] neg_hi:[0,0,1]
	v_pk_mul_f16 v23, 0x35c83bb2, v38
	v_pk_mul_f16 v64, 0x3b76bbdd, v64 op_sel_hi:[1,0]
	v_pk_add_f16 v25, v36, v55 neg_lo:[0,1] neg_hi:[0,1]
	v_add_f16_e32 v12, v22, v12
	v_pk_add_f16 v39, v39, v47
	v_pk_mul_f16 v22, 0xbb293964, v57
	v_pk_fma_f16 v43, 0x3b76b461, v54, v23 neg_lo:[0,0,1] neg_hi:[0,0,1]
	v_pk_add_f16 v8, v44, v8
	v_add_f16_e32 v12, v12, v13
	v_pk_add_f16 v34, v34, v39
	v_pk_add_f16 v36, v64, v63 neg_lo:[0,1] neg_hi:[0,1]
	v_pk_mul_f16 v13, 0xb836b5c8, v59
	v_pk_fma_f16 v39, 0x372239e9, v51, v22 neg_lo:[0,0,1] neg_hi:[0,0,1]
	v_add_f16_e32 v11, v12, v11
	v_pk_add_f16 v34, v43, v34
	v_pk_add_f16 v8, v25, v8
	v_pk_mul_f16 v12, 0xba62bbb2, v49
	v_pk_fma_f16 v25, 0xbacd3b76, v37, v13 neg_lo:[0,0,1] neg_hi:[0,0,1]
	v_add_f16_e32 v10, v11, v10
	v_pk_fma_f16 v11, 0x2de83722, v65, v45
	v_pk_add_f16 v34, v39, v34
	v_pk_add_f16 v8, v36, v8
	v_pk_mul_f16 v43, 0xb5c83964, v46
	v_add_f16_e32 v36, v10, v9
	v_pk_add_f16 v9, v32, v11
	v_pk_fma_f16 v10, 0xbbddb8d2, v40, v24
	v_pk_add_f16 v11, v25, v34
	v_pk_mul_f16 v24, 0x3a62bbf7, v60
	v_pk_fma_f16 v25, 0xb8d2b461, v65, v12 neg_lo:[0,0,1] neg_hi:[0,0,1]
	v_pk_mul_f16 v34, 0x3bb23836, v48
	v_pk_add_f16 v9, v10, v9
	v_pk_fma_f16 v10, 0xb461bbdd, v66, v42
	v_pk_fma_f16 v39, 0xb8d22de8, v67, v24 neg_lo:[0,0,1] neg_hi:[0,0,1]
	v_pk_add_f16 v25, v32, v25
	v_pk_fma_f16 v42, 0xb461bacd, v40, v34 neg_lo:[0,0,1] neg_hi:[0,0,1]
	v_pack_b32_f16 v35, v62, v62
	v_pk_add_f16 v9, v10, v9
	v_pk_fma_f16 v10, 0x3b76b461, v54, v23
	v_pk_add_f16 v11, v39, v11
	v_pk_add_f16 v23, v42, v25
	v_pk_fma_f16 v25, 0x3b7639e9, v66, v43 neg_lo:[0,0,1] neg_hi:[0,0,1]
	v_pk_mul_f16 v39, 0xb836bb29, v38
	v_pk_add_f16 v9, v10, v9
	v_pk_fma_f16 v10, 0x372239e9, v51, v22
	v_pk_mul_f16 v42, 0x3bf7b1e1, v57
	v_pk_add_f16 v23, v25, v23
	v_pk_fma_f16 v25, 0xbacd3722, v54, v39 neg_lo:[0,0,1] neg_hi:[0,0,1]
	v_pk_mul_f16 v22, 0x3964b836, v35
	v_pk_add_f16 v9, v10, v9
	v_pk_fma_f16 v10, 0xbacd3b76, v37, v13
	v_pk_mul_f16 v44, 0xb9643bf7, v59
	v_pk_add_f16 v23, v25, v23
	v_pk_fma_f16 v25, 0x2de8bbdd, v51, v42 neg_lo:[0,0,1] neg_hi:[0,0,1]
	v_pk_fma_f16 v13, 0x39e9bacd, v61, v22 neg_lo:[0,0,1] neg_hi:[0,0,1]
	v_pk_add_f16 v10, v10, v9
	v_pk_fma_f16 v9, 0xb8d2b461, v65, v12
	v_pk_fma_f16 v12, 0xb8d22de8, v67, v24
	v_pk_add_f16 v23, v25, v23
	v_pk_fma_f16 v24, 0x39e92de8, v37, v44 neg_lo:[0,0,1] neg_hi:[0,0,1]
	v_pk_fma_f16 v34, 0xb461bacd, v40, v34
	v_pk_add_f16 v45, v32, v9
	v_pk_add_f16 v9, v13, v11
	v_pk_mul_f16 v38, 0x39643a62, v38
	v_pk_add_f16 v11, v24, v23
	v_pk_fma_f16 v23, 0x3b7639e9, v66, v43
	v_pk_add_f16 v13, v34, v45
	v_pk_mul_f16 v24, 0xb1e1b836, v49
	v_pk_mul_f16 v45, 0xb836bbf7, v46
	;; [unrolled: 1-line block ×3, first 2 shown]
	v_pk_add_f16 v10, v12, v10
	v_pk_add_f16 v13, v23, v13
	v_pk_fma_f16 v23, 0xbacd3722, v54, v39
	v_pk_fma_f16 v34, 0xbbddbacd, v65, v24
	v_pk_mul_f16 v39, 0x35c83b29, v48
	v_pk_fma_f16 v24, 0xbbddbacd, v65, v24 neg_lo:[0,0,1] neg_hi:[0,0,1]
	v_pk_fma_f16 v12, 0xbbdd3b76, v67, v25 neg_lo:[0,0,1] neg_hi:[0,0,1]
	v_pk_add_f16 v13, v23, v13
	v_pk_add_f16 v23, v32, v34
	v_pk_fma_f16 v34, 0x3b763722, v40, v39
	v_pk_add_f16 v24, v32, v24
	v_pk_fma_f16 v32, 0x3b763722, v40, v39 neg_lo:[0,0,1] neg_hi:[0,0,1]
	v_pk_fma_f16 v39, 0x2de8bbdd, v51, v42
	v_pk_mul_f16 v40, 0x3b29b1e1, v59
	v_pk_add_f16 v23, v34, v23
	v_pk_fma_f16 v34, 0xbacd2de8, v66, v45
	v_pk_add_f16 v24, v32, v24
	v_pk_fma_f16 v32, 0xbacd2de8, v66, v45 neg_lo:[0,0,1] neg_hi:[0,0,1]
	v_pk_add_f16 v13, v39, v13
	v_pk_mul_f16 v39, 0xba62b5c8, v57
	v_pk_add_f16 v23, v34, v23
	v_pk_fma_f16 v34, 0x39e9b8d2, v54, v38
	v_pk_add_f16 v24, v32, v24
	v_pk_fma_f16 v32, 0x39e9b8d2, v54, v38 neg_lo:[0,0,1] neg_hi:[0,0,1]
	v_pk_fma_f16 v38, 0x39e92de8, v37, v44
	v_pk_add_f16 v11, v12, v11
	v_pk_add_f16 v23, v34, v23
	v_pk_fma_f16 v34, 0xb8d23b76, v51, v39
	v_pk_add_f16 v24, v32, v24
	v_pk_fma_f16 v32, 0xb8d23b76, v51, v39 neg_lo:[0,0,1] neg_hi:[0,0,1]
	v_pk_add_f16 v13, v38, v13
	v_pk_mul_f16 v38, 0xbbb23964, v60
	v_pk_add_f16 v23, v34, v23
	v_pk_fma_f16 v34, 0x3722bbdd, v37, v40
	v_pk_add_f16 v24, v32, v24
	v_pk_fma_f16 v32, 0x3722bbdd, v37, v40 neg_lo:[0,0,1] neg_hi:[0,0,1]
	v_pk_mul_f16 v12, 0x3b29ba62, v35
	v_pk_fma_f16 v25, 0xbbdd3b76, v67, v25
	v_pk_add_f16 v23, v34, v23
	v_pk_fma_f16 v34, 0xb46139e9, v67, v38
	v_pk_mul_f16 v35, 0x3bf7bbb2, v35
	v_pk_add_f16 v24, v32, v24
	v_pk_fma_f16 v32, 0xb46139e9, v67, v38 neg_lo:[0,0,1] neg_hi:[0,0,1]
	v_pk_fma_f16 v22, 0x39e9bacd, v61, v22
	v_pk_fma_f16 v43, 0x3722b8d2, v61, v12 neg_lo:[0,0,1] neg_hi:[0,0,1]
	v_pk_add_f16 v13, v25, v13
	v_pk_add_f16 v23, v34, v23
	v_pk_fma_f16 v25, 0x2de8b461, v61, v35
	v_pk_fma_f16 v12, 0x3722b8d2, v61, v12
	v_pk_add_f16 v24, v32, v24
	v_pk_fma_f16 v32, 0x2de8b461, v61, v35 neg_lo:[0,0,1] neg_hi:[0,0,1]
	v_pk_add_f16 v34, v22, v10
	v_pk_add_f16 v22, v25, v23
	;; [unrolled: 1-line block ×3, first 2 shown]
	v_lshl_add_u32 v13, v3, 5, v7
	v_pk_add_f16 v10, v43, v11
	v_pk_add_f16 v11, v32, v24
	v_alignbit_b32 v22, v22, v22, 16
	v_alignbit_b32 v23, v12, v12, 16
	;; [unrolled: 1-line block ×4, first 2 shown]
	ds_write_b16 v13, v36
	ds_write_b128 v13, v[8:11] offset:2
	ds_write_b128 v13, v[22:25] offset:18
.LBB0_15:
	s_or_b32 exec_lo, exec_lo, s1
	v_add_nc_u32_e32 v8, 0x66, v3
	v_and_b32_e32 v12, 0xff, v3
	v_add_nc_u32_e32 v11, 0xcc, v3
	v_mov_b32_e32 v23, 0xf0f1
	v_add_nc_u32_e32 v10, 0x132, v3
	v_and_b32_e32 v13, 0xff, v8
	v_mul_lo_u16 v22, 0xf1, v12
	v_add_nc_u32_e32 v9, 0x198, v3
	v_add_nc_u32_e32 v12, 0x1fe, v3
	;; [unrolled: 1-line block ×4, first 2 shown]
	v_mul_lo_u16 v25, 0xf1, v13
	v_lshrrev_b16 v32, 12, v22
	v_mul_u32_u24_sdwa v34, v11, v23 dst_sel:DWORD dst_unused:UNUSED_PAD src0_sel:WORD_0 src1_sel:DWORD
	v_mul_u32_u24_sdwa v43, v10, v23 dst_sel:DWORD dst_unused:UNUSED_PAD src0_sel:WORD_0 src1_sel:DWORD
	;; [unrolled: 1-line block ×6, first 2 shown]
	v_lshrrev_b16 v36, 12, v25
	v_mul_lo_u16 v37, v32, 17
	v_lshrrev_b32_e32 v38, 20, v34
	v_lshrrev_b32_e32 v46, 20, v43
	;; [unrolled: 1-line block ×6, first 2 shown]
	v_mul_lo_u16 v39, v36, 17
	v_sub_nc_u16 v37, v3, v37
	v_mov_b32_e32 v42, 2
	v_mul_lo_u16 v40, v38, 17
	v_mul_lo_u16 v51, v46, 17
	v_mul_lo_u16 v53, v48, 17
	v_mul_lo_u16 v57, v54, 17
	v_mul_lo_u16 v58, v55, 17
	v_mul_lo_u16 v60, v56, 17
	v_sub_nc_u16 v39, v8, v39
	v_lshlrev_b32_sdwa v45, v42, v37 dst_sel:DWORD dst_unused:UNUSED_PAD src0_sel:DWORD src1_sel:BYTE_0
	v_sub_nc_u16 v40, v11, v40
	v_sub_nc_u16 v51, v10, v51
	v_sub_nc_u16 v53, v9, v53
	v_sub_nc_u16 v57, v12, v57
	v_sub_nc_u16 v58, v24, v58
	v_sub_nc_u16 v60, v35, v60
	s_load_dwordx2 s[2:3], s[2:3], 0x0
	s_waitcnt lgkmcnt(0)
	s_barrier
	buffer_gl0_inv
	v_lshlrev_b32_sdwa v47, v42, v39 dst_sel:DWORD dst_unused:UNUSED_PAD src0_sel:DWORD src1_sel:BYTE_0
	global_load_dword v45, v45, s[12:13]
	v_lshlrev_b32_sdwa v49, v42, v40 dst_sel:DWORD dst_unused:UNUSED_PAD src0_sel:DWORD src1_sel:WORD_0
	v_lshlrev_b32_sdwa v59, v42, v51 dst_sel:DWORD dst_unused:UNUSED_PAD src0_sel:DWORD src1_sel:WORD_0
	;; [unrolled: 1-line block ×3, first 2 shown]
	global_load_dword v47, v47, s[12:13]
	v_lshlrev_b32_sdwa v62, v42, v57 dst_sel:DWORD dst_unused:UNUSED_PAD src0_sel:DWORD src1_sel:WORD_0
	s_clause 0x2
	global_load_dword v49, v49, s[12:13]
	global_load_dword v59, v59, s[12:13]
	;; [unrolled: 1-line block ×3, first 2 shown]
	v_lshlrev_b32_sdwa v63, v42, v58 dst_sel:DWORD dst_unused:UNUSED_PAD src0_sel:DWORD src1_sel:WORD_0
	v_lshlrev_b32_sdwa v64, v42, v60 dst_sel:DWORD dst_unused:UNUSED_PAD src0_sel:DWORD src1_sel:WORD_0
	s_clause 0x2
	global_load_dword v62, v62, s[12:13]
	global_load_dword v63, v63, s[12:13]
	;; [unrolled: 1-line block ×3, first 2 shown]
	ds_read_u16 v65, v7
	ds_read_u16 v66, v7 offset:204
	ds_read_u16 v67, v7 offset:408
	;; [unrolled: 1-line block ×15, first 2 shown]
	v_mov_b32_e32 v81, 0x44
	v_mov_b32_e32 v82, 1
	v_lshrrev_b32_e32 v83, 21, v43
	v_mul_u32_u24_e32 v38, 0x44, v38
	v_mul_u32_u24_e32 v43, 0x44, v46
	v_mul_u32_u24_sdwa v32, v32, v81 dst_sel:DWORD dst_unused:UNUSED_PAD src0_sel:WORD_0 src1_sel:DWORD
	v_lshlrev_b32_sdwa v37, v82, v37 dst_sel:DWORD dst_unused:UNUSED_PAD src0_sel:DWORD src1_sel:BYTE_0
	v_lshlrev_b32_sdwa v40, v82, v40 dst_sel:DWORD dst_unused:UNUSED_PAD src0_sel:DWORD src1_sel:WORD_0
	v_lshlrev_b32_sdwa v51, v82, v51 dst_sel:DWORD dst_unused:UNUSED_PAD src0_sel:DWORD src1_sel:WORD_0
	v_mul_u32_u24_sdwa v36, v36, v81 dst_sel:DWORD dst_unused:UNUSED_PAD src0_sel:WORD_0 src1_sel:DWORD
	v_lshrrev_b32_e32 v84, 21, v44
	v_add3_u32 v32, 0, v32, v37
	v_lshlrev_b32_sdwa v37, v82, v39 dst_sel:DWORD dst_unused:UNUSED_PAD src0_sel:DWORD src1_sel:BYTE_0
	v_add3_u32 v39, 0, v38, v40
	v_add3_u32 v40, 0, v43, v51
	v_mul_u32_u24_e32 v44, 0x44, v48
	v_mul_u32_u24_e32 v46, 0x44, v54
	;; [unrolled: 1-line block ×4, first 2 shown]
	v_lshlrev_b32_sdwa v53, v82, v53 dst_sel:DWORD dst_unused:UNUSED_PAD src0_sel:DWORD src1_sel:WORD_0
	v_lshlrev_b32_sdwa v57, v82, v57 dst_sel:DWORD dst_unused:UNUSED_PAD src0_sel:DWORD src1_sel:WORD_0
	;; [unrolled: 1-line block ×4, first 2 shown]
	v_lshrrev_b16 v22, 13, v22
	v_lshrrev_b32_e32 v34, 21, v34
	v_lshrrev_b32_e32 v50, 21, v50
	;; [unrolled: 1-line block ×4, first 2 shown]
	v_lshrrev_b16 v25, 13, v25
	v_add3_u32 v36, 0, v36, v37
	v_add3_u32 v43, 0, v44, v53
	v_add3_u32 v44, 0, v46, v57
	v_add3_u32 v46, 0, v48, v58
	v_add3_u32 v48, 0, v54, v60
	v_mul_lo_u16 v55, v22, 34
	v_mul_lo_u16 v56, v34, 34
	;; [unrolled: 1-line block ×8, first 2 shown]
	v_sub_nc_u16 v55, v3, v55
	v_sub_nc_u16 v56, v11, v56
	;; [unrolled: 1-line block ×8, first 2 shown]
	v_lshlrev_b32_sdwa v88, v42, v55 dst_sel:DWORD dst_unused:UNUSED_PAD src0_sel:DWORD src1_sel:BYTE_0
	v_lshlrev_b32_sdwa v89, v42, v56 dst_sel:DWORD dst_unused:UNUSED_PAD src0_sel:DWORD src1_sel:WORD_0
	v_lshlrev_b32_sdwa v90, v42, v85 dst_sel:DWORD dst_unused:UNUSED_PAD src0_sel:DWORD src1_sel:WORD_0
	;; [unrolled: 1-line block ×6, first 2 shown]
	v_lshlrev_b32_sdwa v42, v42, v81 dst_sel:DWORD dst_unused:UNUSED_PAD src0_sel:DWORD src1_sel:BYTE_0
	s_waitcnt vmcnt(0) lgkmcnt(0)
	s_barrier
	buffer_gl0_inv
	v_mul_u32_u24_e32 v23, 0x88, v23
	v_lshlrev_b32_sdwa v24, v82, v24 dst_sel:DWORD dst_unused:UNUSED_PAD src0_sel:DWORD src1_sel:WORD_0
	v_lshlrev_b32_sdwa v35, v82, v35 dst_sel:DWORD dst_unused:UNUSED_PAD src0_sel:DWORD src1_sel:WORD_0
	v_cmp_gt_u32_e64 s0, 34, v3
	v_mul_f16_sdwa v38, v73, v45 dst_sel:DWORD dst_unused:UNUSED_PAD src0_sel:DWORD src1_sel:WORD_1
	v_mul_f16_sdwa v51, v41, v45 dst_sel:DWORD dst_unused:UNUSED_PAD src0_sel:DWORD src1_sel:WORD_1
	v_fmac_f16_e32 v38, v41, v45
	v_fma_f16 v37, v73, v45, -v51
	v_mul_f16_sdwa v41, v74, v47 dst_sel:DWORD dst_unused:UNUSED_PAD src0_sel:DWORD src1_sel:WORD_1
	v_mul_f16_sdwa v45, v33, v47 dst_sel:DWORD dst_unused:UNUSED_PAD src0_sel:DWORD src1_sel:WORD_1
	;; [unrolled: 1-line block ×14, first 2 shown]
	v_fmac_f16_e32 v41, v33, v47
	v_fma_f16 v33, v74, v47, -v45
	v_fmac_f16_e32 v51, v31, v49
	v_fma_f16 v31, v75, v49, -v53
	v_fmac_f16_e32 v54, v30, v59
	v_fmac_f16_e32 v58, v29, v61
	;; [unrolled: 1-line block ×4, first 2 shown]
	v_sub_f16_e32 v45, v65, v37
	v_fma_f16 v37, v79, v63, -v97
	v_fmac_f16_e32 v98, v26, v64
	v_fma_f16 v30, v76, v59, -v57
	v_fma_f16 v29, v77, v61, -v60
	;; [unrolled: 1-line block ×3, first 2 shown]
	v_sub_f16_e32 v27, v21, v38
	v_fma_f16 v26, v80, v64, -v99
	v_sub_f16_e32 v38, v14, v41
	v_sub_f16_e32 v33, v66, v33
	;; [unrolled: 1-line block ×10, first 2 shown]
	v_fma_f16 v21, v21, 2.0, -v27
	v_fma_f16 v47, v65, 2.0, -v45
	v_sub_f16_e32 v30, v68, v30
	v_sub_f16_e32 v29, v69, v29
	;; [unrolled: 1-line block ×4, first 2 shown]
	ds_write_b16 v32, v27 offset:34
	v_fma_f16 v14, v14, 2.0, -v38
	v_fma_f16 v27, v66, 2.0, -v33
	;; [unrolled: 1-line block ×14, first 2 shown]
	ds_write_b16 v32, v21
	ds_write_b16 v36, v38 offset:34
	ds_write_b16 v36, v14
	ds_write_b16 v39, v15
	ds_write_b16 v39, v41 offset:34
	ds_write_b16 v40, v16
	ds_write_b16 v40, v49 offset:34
	ds_write_b16 v43, v17
	ds_write_b16 v43, v51 offset:34
	ds_write_b16 v44, v18
	ds_write_b16 v44, v53 offset:34
	ds_write_b16 v46, v19
	ds_write_b16 v46, v54 offset:34
	ds_write_b16 v48, v20
	ds_write_b16 v48, v37 offset:34
	s_waitcnt lgkmcnt(0)
	s_barrier
	buffer_gl0_inv
	ds_read_u16 v21, v7
	ds_read_u16 v71, v7 offset:204
	ds_read_u16 v72, v7 offset:408
	;; [unrolled: 1-line block ×15, first 2 shown]
	s_waitcnt lgkmcnt(0)
	s_barrier
	buffer_gl0_inv
	ds_write_b16 v32, v47
	ds_write_b16 v32, v45 offset:34
	ds_write_b16 v36, v27
	ds_write_b16 v36, v33 offset:34
	ds_write_b16 v39, v58
	ds_write_b16 v39, v31 offset:34
	ds_write_b16 v40, v59
	ds_write_b16 v40, v30 offset:34
	ds_write_b16 v43, v60
	ds_write_b16 v43, v29 offset:34
	ds_write_b16 v44, v61
	ds_write_b16 v44, v28 offset:34
	ds_write_b16 v46, v62
	ds_write_b16 v46, v57 offset:34
	ds_write_b16 v48, v63
	ds_write_b16 v48, v26 offset:34
	s_waitcnt lgkmcnt(0)
	s_barrier
	buffer_gl0_inv
	s_clause 0x7
	global_load_dword v46, v88, s[12:13] offset:68
	global_load_dword v41, v42, s[12:13] offset:68
	;; [unrolled: 1-line block ×8, first 2 shown]
	ds_read_u16 v70, v7 offset:1632
	ds_read_u16 v65, v7 offset:1836
	;; [unrolled: 1-line block ×8, first 2 shown]
	v_mov_b32_e32 v15, 0x88
	v_mul_u32_u24_e32 v26, 0x88, v34
	v_mul_u32_u24_e32 v27, 0x88, v83
	;; [unrolled: 1-line block ×4, first 2 shown]
	v_mul_u32_u24_sdwa v22, v22, v15 dst_sel:DWORD dst_unused:UNUSED_PAD src0_sel:WORD_0 src1_sel:DWORD
	v_mul_u32_u24_sdwa v15, v25, v15 dst_sel:DWORD dst_unused:UNUSED_PAD src0_sel:WORD_0 src1_sel:DWORD
	v_lshlrev_b32_sdwa v25, v82, v55 dst_sel:DWORD dst_unused:UNUSED_PAD src0_sel:DWORD src1_sel:BYTE_0
	v_lshlrev_b32_sdwa v31, v82, v56 dst_sel:DWORD dst_unused:UNUSED_PAD src0_sel:DWORD src1_sel:WORD_0
	v_lshlrev_b32_sdwa v32, v82, v85 dst_sel:DWORD dst_unused:UNUSED_PAD src0_sel:DWORD src1_sel:WORD_0
	;; [unrolled: 1-line block ×3, first 2 shown]
	v_mul_u32_u24_e32 v29, 0x88, v50
	v_add3_u32 v53, 0, v22, v25
	v_lshlrev_b32_sdwa v22, v82, v81 dst_sel:DWORD dst_unused:UNUSED_PAD src0_sel:DWORD src1_sel:BYTE_0
	v_add3_u32 v52, 0, v26, v31
	v_add3_u32 v51, 0, v27, v32
	;; [unrolled: 1-line block ×6, first 2 shown]
	v_lshlrev_b32_sdwa v34, v82, v87 dst_sel:DWORD dst_unused:UNUSED_PAD src0_sel:DWORD src1_sel:WORD_0
	ds_read_u16 v62, v7
	ds_read_u16 v63, v7 offset:204
	ds_read_u16 v64, v7 offset:408
	ds_read_u16 v55, v7 offset:612
	ds_read_u16 v56, v7 offset:816
	ds_read_u16 v57, v7 offset:1020
	ds_read_u16 v58, v7 offset:1224
	ds_read_u16 v59, v7 offset:1428
	s_waitcnt vmcnt(0) lgkmcnt(0)
	s_barrier
	buffer_gl0_inv
	v_add3_u32 v49, 0, v29, v34
	v_mul_f16_sdwa v15, v70, v46 dst_sel:DWORD dst_unused:UNUSED_PAD src0_sel:DWORD src1_sel:WORD_1
	v_mul_f16_sdwa v22, v65, v41 dst_sel:DWORD dst_unused:UNUSED_PAD src0_sel:DWORD src1_sel:WORD_1
	v_mul_f16_sdwa v23, v66, v42 dst_sel:DWORD dst_unused:UNUSED_PAD src0_sel:DWORD src1_sel:WORD_1
	v_mul_f16_sdwa v24, v67, v43 dst_sel:DWORD dst_unused:UNUSED_PAD src0_sel:DWORD src1_sel:WORD_1
	v_mul_f16_sdwa v25, v68, v44 dst_sel:DWORD dst_unused:UNUSED_PAD src0_sel:DWORD src1_sel:WORD_1
	v_mul_f16_sdwa v26, v69, v45 dst_sel:DWORD dst_unused:UNUSED_PAD src0_sel:DWORD src1_sel:WORD_1
	v_mul_f16_sdwa v27, v60, v39 dst_sel:DWORD dst_unused:UNUSED_PAD src0_sel:DWORD src1_sel:WORD_1
	v_mul_f16_sdwa v28, v61, v40 dst_sel:DWORD dst_unused:UNUSED_PAD src0_sel:DWORD src1_sel:WORD_1
	v_fmac_f16_e32 v15, v38, v46
	v_fmac_f16_e32 v22, v37, v41
	;; [unrolled: 1-line block ×8, first 2 shown]
	v_sub_f16_e32 v29, v21, v15
	v_sub_f16_e32 v22, v71, v22
	;; [unrolled: 1-line block ×8, first 2 shown]
	v_fma_f16 v21, v21, 2.0, -v29
	v_fma_f16 v28, v71, 2.0, -v22
	v_fma_f16 v30, v72, 2.0, -v23
	v_fma_f16 v31, v73, 2.0, -v24
	v_fma_f16 v32, v74, 2.0, -v25
	v_fma_f16 v33, v75, 2.0, -v26
	v_fma_f16 v34, v76, 2.0, -v27
	v_fma_f16 v35, v77, 2.0, -v15
	ds_write_b16 v53, v29 offset:68
	ds_write_b16 v53, v21
	ds_write_b16 v54, v28
	ds_write_b16 v54, v22 offset:68
	ds_write_b16 v52, v30
	ds_write_b16 v52, v23 offset:68
	;; [unrolled: 2-line block ×7, first 2 shown]
	s_waitcnt lgkmcnt(0)
	s_barrier
	buffer_gl0_inv
	ds_read_u16 v28, v7 offset:1292
	ds_read_u16 v27, v7 offset:1496
	ds_read_u16 v25, v7
	ds_read_u16 v24, v7 offset:204
	ds_read_u16 v22, v7 offset:408
	;; [unrolled: 1-line block ×12, first 2 shown]
                                        ; implicit-def: $vgpr26
	s_and_saveexec_b32 s1, s0
	s_cbranch_execz .LBB0_17
; %bb.16:
	ds_read_u16 v15, v7 offset:1020
	ds_read_u16 v0, v7 offset:2108
	;; [unrolled: 1-line block ×3, first 2 shown]
.LBB0_17:
	s_or_b32 exec_lo, exec_lo, s1
	v_mul_f16_sdwa v38, v38, v46 dst_sel:DWORD dst_unused:UNUSED_PAD src0_sel:DWORD src1_sel:WORD_1
	v_mul_f16_sdwa v37, v37, v41 dst_sel:DWORD dst_unused:UNUSED_PAD src0_sel:DWORD src1_sel:WORD_1
	;; [unrolled: 1-line block ×8, first 2 shown]
	v_fma_f16 v38, v70, v46, -v38
	v_fma_f16 v37, v65, v41, -v37
	v_fma_f16 v20, v66, v42, -v20
	v_fma_f16 v19, v67, v43, -v19
	v_fma_f16 v18, v68, v44, -v18
	v_fma_f16 v17, v69, v45, -v17
	v_fma_f16 v16, v60, v39, -v16
	v_fma_f16 v14, v61, v40, -v14
	v_sub_f16_e32 v38, v62, v38
	v_sub_f16_e32 v37, v63, v37
	;; [unrolled: 1-line block ×8, first 2 shown]
	v_fma_f16 v39, v62, 2.0, -v38
	v_fma_f16 v40, v63, 2.0, -v37
	;; [unrolled: 1-line block ×8, first 2 shown]
	s_waitcnt lgkmcnt(0)
	s_barrier
	buffer_gl0_inv
	ds_write_b16 v53, v39
	ds_write_b16 v53, v38 offset:68
	ds_write_b16 v54, v40
	ds_write_b16 v54, v37 offset:68
	;; [unrolled: 2-line block ×8, first 2 shown]
	s_waitcnt lgkmcnt(0)
	s_barrier
	buffer_gl0_inv
	ds_read_u16 v39, v7 offset:1292
	ds_read_u16 v38, v7 offset:1496
	ds_read_u16 v20, v7
	ds_read_u16 v19, v7 offset:204
	ds_read_u16 v17, v7 offset:408
	;; [unrolled: 1-line block ×12, first 2 shown]
                                        ; implicit-def: $vgpr37
	s_and_saveexec_b32 s1, s0
	s_cbranch_execz .LBB0_19
; %bb.18:
	ds_read_u16 v14, v7 offset:1020
	ds_read_u16 v4, v7 offset:2108
	;; [unrolled: 1-line block ×3, first 2 shown]
.LBB0_19:
	s_or_b32 exec_lo, exec_lo, s1
	v_add_nc_u32_e32 v48, 0xffffffbc, v3
	v_cmp_gt_u32_e64 s1, 0x44, v3
	v_mul_lo_u16 v13, 0x79, v13
	v_mov_b32_e32 v51, 0xf0f1
	v_mov_b32_e32 v49, 0
	;; [unrolled: 1-line block ×3, first 2 shown]
	v_cndmask_b32_e64 v48, v48, v3, s1
	v_lshrrev_b16 v13, 13, v13
	v_mul_u32_u24_sdwa v50, v11, v51 dst_sel:DWORD dst_unused:UNUSED_PAD src0_sel:WORD_0 src1_sel:DWORD
	v_mul_u32_u24_sdwa v53, v10, v51 dst_sel:DWORD dst_unused:UNUSED_PAD src0_sel:WORD_0 src1_sel:DWORD
	;; [unrolled: 1-line block ×3, first 2 shown]
	v_lshlrev_b32_e32 v48, 1, v48
	v_mul_lo_u16 v54, 0x44, v13
	v_lshrrev_b32_e32 v55, 22, v50
	v_lshrrev_b32_e32 v53, 22, v53
	;; [unrolled: 1-line block ×3, first 2 shown]
	v_lshlrev_b64 v[49:50], 2, v[48:49]
	v_sub_nc_u16 v54, v8, v54
	v_mul_lo_u16 v57, 0x44, v55
	v_mul_lo_u16 v58, 0x44, v53
	v_add_co_u32 v49, s1, s12, v49
	v_add_co_ci_u32_e64 v50, s1, s13, v50, s1
	v_sub_nc_u16 v11, v11, v57
	v_lshlrev_b32_sdwa v57, v52, v54 dst_sel:DWORD dst_unused:UNUSED_PAD src0_sel:DWORD src1_sel:BYTE_0
	v_sub_nc_u16 v10, v10, v58
	global_load_dwordx2 v[60:61], v[49:50], off offset:204
	v_cmp_lt_u32_e64 s1, 0x43, v3
	global_load_dwordx2 v[62:63], v57, s[12:13] offset:204
	v_mul_lo_u16 v49, 0x44, v56
	v_lshlrev_b32_sdwa v50, v52, v11 dst_sel:DWORD dst_unused:UNUSED_PAD src0_sel:DWORD src1_sel:WORD_0
	v_mul_u32_u24_e32 v56, 0x198, v56
	v_sub_nc_u16 v9, v9, v49
	global_load_dwordx2 v[64:65], v50, s[12:13] offset:204
	v_lshlrev_b32_sdwa v49, v52, v10 dst_sel:DWORD dst_unused:UNUSED_PAD src0_sel:DWORD src1_sel:WORD_0
	global_load_dwordx2 v[66:67], v49, s[12:13] offset:204
	v_mul_u32_u24_sdwa v50, v12, v51 dst_sel:DWORD dst_unused:UNUSED_PAD src0_sel:WORD_0 src1_sel:DWORD
	v_lshlrev_b32_sdwa v51, v52, v9 dst_sel:DWORD dst_unused:UNUSED_PAD src0_sel:DWORD src1_sel:WORD_0
	v_lshrrev_b32_e32 v49, 22, v50
	global_load_dwordx2 v[68:69], v51, s[12:13] offset:204
	v_mov_b32_e32 v50, 1
	v_mul_lo_u16 v49, 0x44, v49
	v_lshlrev_b32_sdwa v10, v50, v10 dst_sel:DWORD dst_unused:UNUSED_PAD src0_sel:DWORD src1_sel:WORD_0
	v_lshlrev_b32_sdwa v52, v50, v54 dst_sel:DWORD dst_unused:UNUSED_PAD src0_sel:DWORD src1_sel:BYTE_0
	v_lshlrev_b32_sdwa v11, v50, v11 dst_sel:DWORD dst_unused:UNUSED_PAD src0_sel:DWORD src1_sel:WORD_0
	v_sub_nc_u16 v12, v12, v49
	v_lshlrev_b32_sdwa v9, v50, v9 dst_sel:DWORD dst_unused:UNUSED_PAD src0_sel:DWORD src1_sel:WORD_0
	v_and_b32_e32 v12, 0xffff, v12
	v_lshlrev_b32_e32 v49, 3, v12
	global_load_dwordx2 v[70:71], v49, s[12:13] offset:204
	v_mov_b32_e32 v49, 0x198
	v_cndmask_b32_e64 v51, 0, 0x198, s1
	s_waitcnt vmcnt(0) lgkmcnt(0)
	s_barrier
	buffer_gl0_inv
	v_mul_u32_u24_sdwa v13, v13, v49 dst_sel:DWORD dst_unused:UNUSED_PAD src0_sel:WORD_0 src1_sel:DWORD
	v_mul_u32_u24_e32 v49, 0x198, v55
	v_mul_u32_u24_e32 v55, 0x198, v53
	v_add3_u32 v53, 0, v51, v48
	v_lshl_add_u32 v48, v12, 1, 0
	v_add3_u32 v52, 0, v13, v52
	v_add3_u32 v51, 0, v49, v11
	;; [unrolled: 1-line block ×4, first 2 shown]
	v_mul_f16_sdwa v58, v46, v60 dst_sel:DWORD dst_unused:UNUSED_PAD src0_sel:DWORD src1_sel:WORD_1
	v_mul_f16_sdwa v59, v47, v61 dst_sel:DWORD dst_unused:UNUSED_PAD src0_sel:DWORD src1_sel:WORD_1
	;; [unrolled: 1-line block ×6, first 2 shown]
	v_fmac_f16_e32 v58, v35, v60
	v_fmac_f16_e32 v59, v36, v61
	v_mul_f16_sdwa v73, v28, v62 dst_sel:DWORD dst_unused:UNUSED_PAD src0_sel:DWORD src1_sel:WORD_1
	v_mul_f16_sdwa v74, v34, v63 dst_sel:DWORD dst_unused:UNUSED_PAD src0_sel:DWORD src1_sel:WORD_1
	v_mul_f16_sdwa v54, v38, v64 dst_sel:DWORD dst_unused:UNUSED_PAD src0_sel:DWORD src1_sel:WORD_1
	v_mul_f16_sdwa v56, v44, v65 dst_sel:DWORD dst_unused:UNUSED_PAD src0_sel:DWORD src1_sel:WORD_1
	v_mul_f16_sdwa v76, v33, v65 dst_sel:DWORD dst_unused:UNUSED_PAD src0_sel:DWORD src1_sel:WORD_1
	v_fmac_f16_e32 v55, v28, v62
	v_fmac_f16_e32 v57, v34, v63
	v_mul_f16_sdwa v75, v27, v64 dst_sel:DWORD dst_unused:UNUSED_PAD src0_sel:DWORD src1_sel:WORD_1
	v_mul_f16_sdwa v9, v40, v66 dst_sel:DWORD dst_unused:UNUSED_PAD src0_sel:DWORD src1_sel:WORD_1
	;; [unrolled: 1-line block ×5, first 2 shown]
	v_fma_f16 v46, v46, v60, -v13
	v_fma_f16 v35, v47, v61, -v72
	v_fmac_f16_e32 v54, v27, v64
	v_mul_f16_sdwa v10, v43, v68 dst_sel:DWORD dst_unused:UNUSED_PAD src0_sel:DWORD src1_sel:WORD_1
	v_mul_f16_sdwa v12, v41, v69 dst_sel:DWORD dst_unused:UNUSED_PAD src0_sel:DWORD src1_sel:WORD_1
	;; [unrolled: 1-line block ×4, first 2 shown]
	v_fmac_f16_e32 v56, v33, v65
	v_fmac_f16_e32 v9, v29, v66
	;; [unrolled: 1-line block ×5, first 2 shown]
	v_fma_f16 v27, v41, v69, -v80
	v_add_f16_e32 v41, v58, v59
	v_fma_f16 v39, v39, v62, -v73
	v_fma_f16 v34, v45, v63, -v74
	;; [unrolled: 1-line block ×3, first 2 shown]
	v_add_f16_e32 v44, v55, v57
	v_fma_f16 v36, v38, v64, -v75
	v_fma_f16 v28, v40, v66, -v77
	v_fma_f16 v13, v42, v67, -v78
	v_fma_f16 v29, v43, v68, -v79
	v_add_f16_e32 v40, v25, v58
	v_sub_f16_e32 v42, v46, v35
	v_add_f16_e32 v43, v24, v55
	v_add_f16_e32 v47, v9, v11
	;; [unrolled: 1-line block ×3, first 2 shown]
	v_mul_f16_sdwa v31, v37, v71 dst_sel:DWORD dst_unused:UNUSED_PAD src0_sel:DWORD src1_sel:WORD_1
	v_mul_f16_sdwa v30, v4, v70 dst_sel:DWORD dst_unused:UNUSED_PAD src0_sel:DWORD src1_sel:WORD_1
	;; [unrolled: 1-line block ×4, first 2 shown]
	v_fmac_f16_e32 v25, -0.5, v41
	v_fmac_f16_e32 v31, v26, v71
	v_add_f16_e32 v26, v54, v56
	v_sub_f16_e32 v45, v39, v34
	v_fmac_f16_e32 v24, -0.5, v44
	v_fmac_f16_e32 v30, v0, v70
	v_fma_f16 v32, v4, v70, -v32
	v_fma_f16 v4, v37, v71, -v38
	v_add_f16_e32 v0, v22, v54
	v_sub_f16_e32 v37, v36, v33
	v_add_f16_e32 v38, v21, v9
	v_sub_f16_e32 v60, v28, v13
	;; [unrolled: 2-line block ×3, first 2 shown]
	v_add_f16_e32 v40, v40, v59
	v_add_f16_e32 v41, v43, v57
	v_fmac_f16_e32 v22, -0.5, v26
	v_fmac_f16_e32 v21, -0.5, v47
	;; [unrolled: 1-line block ×3, first 2 shown]
	v_fmamk_f16 v43, v42, 0xbaee, v25
	v_fmac_f16_e32 v25, 0x3aee, v42
	v_fmamk_f16 v42, v45, 0xbaee, v24
	v_fmac_f16_e32 v24, 0x3aee, v45
	v_add_f16_e32 v0, v0, v56
	v_add_f16_e32 v26, v38, v11
	;; [unrolled: 1-line block ×3, first 2 shown]
	ds_write_b16 v53, v40
	v_fmamk_f16 v40, v37, 0xbaee, v22
	v_fmac_f16_e32 v22, 0x3aee, v37
	v_fmamk_f16 v37, v60, 0xbaee, v21
	v_fmac_f16_e32 v21, 0x3aee, v60
	;; [unrolled: 2-line block ×3, first 2 shown]
	ds_write_b16 v53, v43 offset:136
	ds_write_b16 v53, v25 offset:272
	ds_write_b16 v52, v41
	ds_write_b16 v52, v42 offset:136
	ds_write_b16 v52, v24 offset:272
	ds_write_b16 v51, v0
	ds_write_b16 v51, v40 offset:136
	ds_write_b16 v51, v22 offset:272
	ds_write_b16 v50, v26
	ds_write_b16 v50, v37 offset:136
	ds_write_b16 v50, v21 offset:272
	ds_write_b16 v49, v38
	ds_write_b16 v49, v44 offset:136
	ds_write_b16 v49, v23 offset:272
	s_and_saveexec_b32 s1, s0
	s_cbranch_execz .LBB0_21
; %bb.20:
	v_add_f16_e32 v0, v30, v31
	v_add_f16_e32 v22, v15, v30
	v_sub_f16_e32 v21, v32, v4
	v_fma_f16 v0, -0.5, v0, v15
	v_add_f16_e32 v15, v22, v31
	v_fmamk_f16 v22, v21, 0x3aee, v0
	v_fmac_f16_e32 v0, 0xbaee, v21
	ds_write_b16 v48, v15 offset:2856
	ds_write_b16 v48, v0 offset:2992
	;; [unrolled: 1-line block ×3, first 2 shown]
.LBB0_21:
	s_or_b32 exec_lo, exec_lo, s1
	v_add_f16_e32 v0, v46, v35
	v_add_f16_e32 v15, v20, v46
	v_sub_f16_e32 v21, v58, v59
	v_add_f16_e32 v22, v39, v34
	v_add_f16_e32 v23, v36, v33
	v_fmac_f16_e32 v20, -0.5, v0
	v_add_f16_e32 v0, v19, v39
	v_add_f16_e32 v35, v15, v35
	v_fmac_f16_e32 v19, -0.5, v22
	v_sub_f16_e32 v15, v55, v57
	v_fmamk_f16 v37, v21, 0x3aee, v20
	v_add_f16_e32 v34, v0, v34
	v_add_f16_e32 v0, v17, v36
	v_fmac_f16_e32 v20, 0xbaee, v21
	v_fmac_f16_e32 v17, -0.5, v23
	v_sub_f16_e32 v21, v54, v56
	v_fmamk_f16 v36, v15, 0x3aee, v19
	v_add_f16_e32 v33, v0, v33
	v_add_f16_e32 v0, v28, v13
	v_fmac_f16_e32 v19, 0xbaee, v15
	v_fmamk_f16 v38, v21, 0x3aee, v17
	v_fmac_f16_e32 v17, 0xbaee, v21
	v_add_f16_e32 v15, v29, v27
	v_add_f16_e32 v21, v16, v28
	v_fmac_f16_e32 v16, -0.5, v0
	v_sub_f16_e32 v0, v9, v11
	v_add_f16_e32 v9, v18, v29
	v_fmac_f16_e32 v18, -0.5, v15
	v_sub_f16_e32 v39, v10, v12
	v_add_f16_e32 v40, v21, v13
	v_fmamk_f16 v41, v0, 0x3aee, v16
	v_fmac_f16_e32 v16, 0xbaee, v0
	v_add_f16_e32 v42, v9, v27
	s_waitcnt lgkmcnt(0)
	s_barrier
	buffer_gl0_inv
	ds_read_u16 v0, v7
	ds_read_u16 v10, v7 offset:1632
	ds_read_u16 v24, v7 offset:1428
	;; [unrolled: 1-line block ×15, first 2 shown]
	v_fmamk_f16 v43, v39, 0x3aee, v18
	v_fmac_f16_e32 v18, 0xbaee, v39
	s_waitcnt lgkmcnt(0)
	s_barrier
	buffer_gl0_inv
	ds_write_b16 v53, v35
	ds_write_b16 v53, v37 offset:136
	ds_write_b16 v53, v20 offset:272
	ds_write_b16 v52, v34
	ds_write_b16 v52, v36 offset:136
	ds_write_b16 v52, v19 offset:272
	;; [unrolled: 3-line block ×5, first 2 shown]
	s_and_saveexec_b32 s1, s0
	s_cbranch_execz .LBB0_23
; %bb.22:
	v_add_f16_e32 v16, v32, v4
	v_add_f16_e32 v17, v14, v32
	v_sub_f16_e32 v18, v30, v31
	v_fmac_f16_e32 v14, -0.5, v16
	v_add_f16_e32 v4, v17, v4
	v_fmamk_f16 v16, v18, 0x3aee, v14
	v_fmamk_f16 v14, v18, 0xbaee, v14
	ds_write_b16 v48, v4 offset:2856
	ds_write_b16 v48, v16 offset:2992
	;; [unrolled: 1-line block ×3, first 2 shown]
.LBB0_23:
	s_or_b32 exec_lo, exec_lo, s1
	s_waitcnt lgkmcnt(0)
	s_barrier
	buffer_gl0_inv
	s_and_saveexec_b32 s0, vcc_lo
	s_cbranch_execz .LBB0_25
; %bb.24:
	v_mul_u32_u24_e32 v4, 7, v8
	v_mul_lo_u32 v14, s2, v6
	v_mul_hi_u32 v40, 0xa0a0a0a1, v8
	v_lshlrev_b64 v[1:2], 2, v[1:2]
	v_lshlrev_b32_e32 v4, 2, v4
	s_clause 0x1
	global_load_dwordx4 v[16:19], v4, s[12:13] offset:748
	global_load_dwordx3 v[34:36], v4, s[12:13] offset:764
	v_mul_u32_u24_e32 v4, 7, v3
	v_lshlrev_b32_e32 v4, 2, v4
	s_clause 0x1
	global_load_dwordx4 v[30:33], v4, s[12:13] offset:748
	global_load_dwordx3 v[37:39], v4, s[12:13] offset:764
	v_mul_lo_u32 v4, s3, v5
	v_mad_u64_u32 v[5:6], null, s2, v5, 0
	ds_read_u16 v20, v7 offset:3060
	ds_read_u16 v44, v7 offset:2856
	;; [unrolled: 1-line block ×12, first 2 shown]
	v_add3_u32 v6, v6, v14, v4
	ds_read_u16 v14, v7 offset:612
	ds_read_u16 v55, v7 offset:408
	;; [unrolled: 1-line block ×3, first 2 shown]
	ds_read_u16 v57, v7
	v_mov_b32_e32 v4, 0
	v_lshlrev_b64 v[5:6], 2, v[5:6]
	v_lshlrev_b64 v[7:8], 2, v[3:4]
	v_add_co_u32 v3, vcc_lo, s10, v5
	v_add_co_ci_u32_e32 v5, vcc_lo, s11, v6, vcc_lo
	v_lshrrev_b32_e32 v6, 7, v40
	v_add_co_u32 v1, vcc_lo, v3, v1
	v_add_co_ci_u32_e32 v2, vcc_lo, v5, v2, vcc_lo
	v_mul_u32_u24_e32 v3, 0x594, v6
	v_add_co_u32 v1, vcc_lo, v1, v7
	v_add_co_ci_u32_e32 v2, vcc_lo, v2, v8, vcc_lo
	v_lshlrev_b64 v[3:4], 2, v[3:4]
	v_add_co_u32 v5, vcc_lo, 0x800, v1
	v_add_co_ci_u32_e32 v6, vcc_lo, 0, v2, vcc_lo
	v_add_co_u32 v3, vcc_lo, v1, v3
	v_add_co_ci_u32_e32 v4, vcc_lo, v2, v4, vcc_lo
	;; [unrolled: 2-line block ×5, first 2 shown]
	s_waitcnt vmcnt(3)
	v_lshrrev_b32_e32 v58, 16, v18
	s_waitcnt vmcnt(2)
	v_lshrrev_b32_e32 v61, 16, v36
	v_lshrrev_b32_e32 v59, 16, v19
	v_mul_f16_e32 v63, v29, v19
	v_mul_f16_sdwa v64, v25, v16 dst_sel:DWORD dst_unused:UNUSED_PAD src0_sel:DWORD src1_sel:WORD_1
	s_waitcnt lgkmcnt(3)
	v_mul_f16_sdwa v68, v14, v16 dst_sel:DWORD dst_unused:UNUSED_PAD src0_sel:DWORD src1_sel:WORD_1
	v_mul_f16_sdwa v70, v53, v17 dst_sel:DWORD dst_unused:UNUSED_PAD src0_sel:DWORD src1_sel:WORD_1
	;; [unrolled: 1-line block ×6, first 2 shown]
	s_waitcnt vmcnt(1)
	v_lshrrev_b32_e32 v72, 16, v32
	v_lshrrev_b32_e32 v73, 16, v33
	s_waitcnt vmcnt(0)
	v_lshrrev_b32_e32 v76, 16, v39
	s_waitcnt lgkmcnt(2)
	v_mul_f16_sdwa v82, v55, v30 dst_sel:DWORD dst_unused:UNUSED_PAD src0_sel:DWORD src1_sel:WORD_1
	v_mul_f16_e32 v66, v24, v18
	v_mul_f16_e32 v67, v27, v36
	v_mul_f16_sdwa v69, v47, v34 dst_sel:DWORD dst_unused:UNUSED_PAD src0_sel:DWORD src1_sel:WORD_1
	v_mul_f16_e32 v74, v10, v33
	v_mul_f16_sdwa v75, v11, v31 dst_sel:DWORD dst_unused:UNUSED_PAD src0_sel:DWORD src1_sel:WORD_1
	v_mul_f16_sdwa v77, v15, v38 dst_sel:DWORD dst_unused:UNUSED_PAD src0_sel:DWORD src1_sel:WORD_1
	;; [unrolled: 1-line block ×4, first 2 shown]
	v_mul_f16_e32 v80, v12, v32
	v_mul_f16_e32 v81, v21, v39
	v_mul_f16_sdwa v83, v48, v37 dst_sel:DWORD dst_unused:UNUSED_PAD src0_sel:DWORD src1_sel:WORD_1
	v_mul_f16_sdwa v84, v54, v31 dst_sel:DWORD dst_unused:UNUSED_PAD src0_sel:DWORD src1_sel:WORD_1
	;; [unrolled: 1-line block ×3, first 2 shown]
	v_mul_f16_e32 v24, v24, v58
	v_mul_f16_e32 v27, v27, v61
	v_fmac_f16_e32 v82, v13, v30
	v_mul_f16_e32 v12, v12, v72
	v_mul_f16_e32 v13, v21, v76
	;; [unrolled: 1-line block ×3, first 2 shown]
	v_fmac_f16_e32 v63, v49, v59
	v_fma_f16 v14, v14, v16, -v64
	v_fmac_f16_e32 v68, v25, v16
	v_mul_f16_e32 v16, v29, v59
	v_fmac_f16_e32 v70, v22, v17
	v_fmac_f16_e32 v71, v26, v35
	v_fma_f16 v53, v53, v17, -v60
	v_fma_f16 v45, v45, v35, -v62
	;; [unrolled: 1-line block ×3, first 2 shown]
	v_fmac_f16_e32 v67, v20, v61
	v_fmac_f16_e32 v69, v28, v34
	v_fmac_f16_e32 v74, v50, v73
	v_fma_f16 v17, v54, v31, -v75
	v_fma_f16 v22, v46, v38, -v77
	;; [unrolled: 1-line block ×4, first 2 shown]
	v_fmac_f16_e32 v80, v52, v72
	v_fmac_f16_e32 v81, v44, v76
	;; [unrolled: 1-line block ×5, first 2 shown]
	v_fma_f16 v18, v51, v18, -v24
	v_fma_f16 v20, v20, v36, -v27
	;; [unrolled: 1-line block ×5, first 2 shown]
	v_fmac_f16_e32 v66, v51, v58
	v_sub_f16_e32 v15, v9, v63
	v_fma_f16 v16, v49, v19, -v16
	v_sub_f16_e32 v19, v70, v71
	v_sub_f16_e32 v11, v53, v45
	;; [unrolled: 1-line block ×12, first 2 shown]
	s_waitcnt lgkmcnt(0)
	v_sub_f16_e32 v10, v57, v10
	v_sub_f16_e32 v23, v66, v67
	;; [unrolled: 1-line block ×3, first 2 shown]
	v_fma_f16 v9, v9, 2.0, -v15
	v_fma_f16 v33, v70, 2.0, -v19
	v_add_f16_e32 v31, v11, v15
	v_fma_f16 v14, v14, 2.0, -v21
	v_add_f16_e32 v35, v27, v22
	v_sub_f16_e32 v36, v26, v28
	v_fma_f16 v0, v0, 2.0, -v27
	v_fma_f16 v37, v84, 2.0, -v30
	;; [unrolled: 1-line block ×6, first 2 shown]
	v_add_f16_e32 v38, v24, v20
	v_fma_f16 v18, v18, 2.0, -v20
	v_add_f16_e32 v39, v29, v13
	v_fma_f16 v12, v12, 2.0, -v13
	v_fma_f16 v13, v57, 2.0, -v10
	v_sub_f16_e32 v32, v21, v23
	v_fma_f16 v11, v53, 2.0, -v11
	v_fma_f16 v34, v68, 2.0, -v24
	;; [unrolled: 1-line block ×3, first 2 shown]
	v_sub_f16_e32 v19, v16, v19
	v_sub_f16_e32 v20, v9, v33
	v_fma_f16 v33, v56, 2.0, -v16
	v_sub_f16_e32 v30, v10, v30
	v_sub_f16_e32 v37, v0, v37
	;; [unrolled: 1-line block ×3, first 2 shown]
	v_fmamk_f16 v44, v38, 0x39a8, v31
	v_sub_f16_e32 v18, v14, v18
	v_sub_f16_e32 v12, v25, v12
	;; [unrolled: 1-line block ×4, first 2 shown]
	v_fma_f16 v15, v15, 2.0, -v31
	v_fma_f16 v21, v21, 2.0, -v32
	;; [unrolled: 1-line block ×4, first 2 shown]
	v_fmamk_f16 v45, v32, 0x39a8, v19
	v_sub_f16_e32 v11, v33, v11
	v_fma_f16 v24, v24, 2.0, -v38
	v_fma_f16 v16, v16, 2.0, -v19
	v_fmamk_f16 v46, v39, 0x39a8, v35
	v_fmamk_f16 v47, v36, 0x39a8, v30
	v_fma_f16 v29, v29, 2.0, -v39
	v_fma_f16 v10, v10, 2.0, -v30
	;; [unrolled: 1-line block ×4, first 2 shown]
	v_fmac_f16_e32 v44, 0x39a8, v32
	v_add_f16_e32 v32, v20, v18
	v_fma_f16 v14, v14, 2.0, -v18
	v_add_f16_e32 v18, v37, v12
	v_fma_f16 v13, v13, 2.0, -v17
	v_fma_f16 v12, v25, 2.0, -v12
	;; [unrolled: 1-line block ×4, first 2 shown]
	v_fmac_f16_e32 v45, 0xb9a8, v38
	v_sub_f16_e32 v23, v11, v23
	v_fmamk_f16 v38, v24, 0xb9a8, v15
	v_fmamk_f16 v48, v21, 0xb9a8, v16
	v_fma_f16 v33, v33, 2.0, -v11
	v_fmac_f16_e32 v46, 0x39a8, v36
	v_fmac_f16_e32 v47, 0xb9a8, v39
	v_sub_f16_e32 v28, v17, v28
	v_fmamk_f16 v36, v29, 0xb9a8, v27
	v_fmamk_f16 v39, v26, 0xb9a8, v10
	v_sub_f16_e32 v22, v0, v22
	v_sub_f16_e32 v12, v13, v12
	;; [unrolled: 1-line block ×3, first 2 shown]
	v_fmac_f16_e32 v38, 0x39a8, v21
	v_fmac_f16_e32 v48, 0xb9a8, v24
	v_fma_f16 v20, v20, 2.0, -v32
	v_fma_f16 v11, v11, 2.0, -v23
	v_sub_f16_e32 v14, v33, v14
	v_fmac_f16_e32 v36, 0x39a8, v26
	v_fmac_f16_e32 v39, 0xb9a8, v29
	v_fma_f16 v26, v37, 2.0, -v18
	v_fma_f16 v17, v17, 2.0, -v28
	v_pack_b32_f16 v18, v18, v28
	v_fma_f16 v25, v31, 2.0, -v44
	v_fma_f16 v19, v19, 2.0, -v45
	v_fma_f16 v21, v35, 2.0, -v46
	v_fma_f16 v24, v30, 2.0, -v47
	v_pack_b32_f16 v28, v46, v47
	v_fma_f16 v0, v0, 2.0, -v22
	v_fma_f16 v13, v13, 2.0, -v12
	;; [unrolled: 1-line block ×3, first 2 shown]
	v_pack_b32_f16 v23, v32, v23
	v_fma_f16 v15, v15, 2.0, -v38
	v_fma_f16 v16, v16, 2.0, -v48
	;; [unrolled: 1-line block ×5, first 2 shown]
	v_pack_b32_f16 v17, v26, v17
	global_store_dword v[7:8], v18, off offset:800
	global_store_dword v[7:8], v28, off offset:1616
	v_pack_b32_f16 v7, v20, v11
	v_pack_b32_f16 v21, v21, v24
	;; [unrolled: 1-line block ×9, first 2 shown]
	global_store_dword v[42:43], v23, off offset:1208
	v_pack_b32_f16 v10, v27, v10
	global_store_dword v[1:2], v17, off offset:1632
	global_store_dword v[5:6], v21, off offset:400
	;; [unrolled: 1-line block ×4, first 2 shown]
	v_pack_b32_f16 v5, v9, v30
	v_pack_b32_f16 v6, v15, v16
	global_store_dword v[3:4], v7, off offset:2040
	global_store_dword v[40:41], v8, off offset:808
	;; [unrolled: 1-line block ×4, first 2 shown]
	global_store_dword v[1:2], v0, off
	global_store_dword v[1:2], v10, off offset:816
	global_store_dword v[3:4], v5, off offset:408
	;; [unrolled: 1-line block ×4, first 2 shown]
.LBB0_25:
	s_endpgm
	.section	.rodata,"a",@progbits
	.p2align	6, 0x0
	.amdhsa_kernel fft_rtc_back_len1632_factors_17_2_2_3_8_wgs_102_tpt_102_halfLds_half_op_CI_CI_unitstride_sbrr_dirReg
		.amdhsa_group_segment_fixed_size 0
		.amdhsa_private_segment_fixed_size 0
		.amdhsa_kernarg_size 104
		.amdhsa_user_sgpr_count 6
		.amdhsa_user_sgpr_private_segment_buffer 1
		.amdhsa_user_sgpr_dispatch_ptr 0
		.amdhsa_user_sgpr_queue_ptr 0
		.amdhsa_user_sgpr_kernarg_segment_ptr 1
		.amdhsa_user_sgpr_dispatch_id 0
		.amdhsa_user_sgpr_flat_scratch_init 0
		.amdhsa_user_sgpr_private_segment_size 0
		.amdhsa_wavefront_size32 1
		.amdhsa_uses_dynamic_stack 0
		.amdhsa_system_sgpr_private_segment_wavefront_offset 0
		.amdhsa_system_sgpr_workgroup_id_x 1
		.amdhsa_system_sgpr_workgroup_id_y 0
		.amdhsa_system_sgpr_workgroup_id_z 0
		.amdhsa_system_sgpr_workgroup_info 0
		.amdhsa_system_vgpr_workitem_id 0
		.amdhsa_next_free_vgpr 100
		.amdhsa_next_free_sgpr 27
		.amdhsa_reserve_vcc 1
		.amdhsa_reserve_flat_scratch 0
		.amdhsa_float_round_mode_32 0
		.amdhsa_float_round_mode_16_64 0
		.amdhsa_float_denorm_mode_32 3
		.amdhsa_float_denorm_mode_16_64 3
		.amdhsa_dx10_clamp 1
		.amdhsa_ieee_mode 1
		.amdhsa_fp16_overflow 0
		.amdhsa_workgroup_processor_mode 1
		.amdhsa_memory_ordered 1
		.amdhsa_forward_progress 0
		.amdhsa_shared_vgpr_count 0
		.amdhsa_exception_fp_ieee_invalid_op 0
		.amdhsa_exception_fp_denorm_src 0
		.amdhsa_exception_fp_ieee_div_zero 0
		.amdhsa_exception_fp_ieee_overflow 0
		.amdhsa_exception_fp_ieee_underflow 0
		.amdhsa_exception_fp_ieee_inexact 0
		.amdhsa_exception_int_div_zero 0
	.end_amdhsa_kernel
	.text
.Lfunc_end0:
	.size	fft_rtc_back_len1632_factors_17_2_2_3_8_wgs_102_tpt_102_halfLds_half_op_CI_CI_unitstride_sbrr_dirReg, .Lfunc_end0-fft_rtc_back_len1632_factors_17_2_2_3_8_wgs_102_tpt_102_halfLds_half_op_CI_CI_unitstride_sbrr_dirReg
                                        ; -- End function
	.section	.AMDGPU.csdata,"",@progbits
; Kernel info:
; codeLenInByte = 13384
; NumSgprs: 29
; NumVgprs: 100
; ScratchSize: 0
; MemoryBound: 0
; FloatMode: 240
; IeeeMode: 1
; LDSByteSize: 0 bytes/workgroup (compile time only)
; SGPRBlocks: 3
; VGPRBlocks: 12
; NumSGPRsForWavesPerEU: 29
; NumVGPRsForWavesPerEU: 100
; Occupancy: 9
; WaveLimiterHint : 1
; COMPUTE_PGM_RSRC2:SCRATCH_EN: 0
; COMPUTE_PGM_RSRC2:USER_SGPR: 6
; COMPUTE_PGM_RSRC2:TRAP_HANDLER: 0
; COMPUTE_PGM_RSRC2:TGID_X_EN: 1
; COMPUTE_PGM_RSRC2:TGID_Y_EN: 0
; COMPUTE_PGM_RSRC2:TGID_Z_EN: 0
; COMPUTE_PGM_RSRC2:TIDIG_COMP_CNT: 0
	.text
	.p2alignl 6, 3214868480
	.fill 48, 4, 3214868480
	.type	__hip_cuid_ae5b9475e9683c77,@object ; @__hip_cuid_ae5b9475e9683c77
	.section	.bss,"aw",@nobits
	.globl	__hip_cuid_ae5b9475e9683c77
__hip_cuid_ae5b9475e9683c77:
	.byte	0                               ; 0x0
	.size	__hip_cuid_ae5b9475e9683c77, 1

	.ident	"AMD clang version 19.0.0git (https://github.com/RadeonOpenCompute/llvm-project roc-6.4.0 25133 c7fe45cf4b819c5991fe208aaa96edf142730f1d)"
	.section	".note.GNU-stack","",@progbits
	.addrsig
	.addrsig_sym __hip_cuid_ae5b9475e9683c77
	.amdgpu_metadata
---
amdhsa.kernels:
  - .args:
      - .actual_access:  read_only
        .address_space:  global
        .offset:         0
        .size:           8
        .value_kind:     global_buffer
      - .offset:         8
        .size:           8
        .value_kind:     by_value
      - .actual_access:  read_only
        .address_space:  global
        .offset:         16
        .size:           8
        .value_kind:     global_buffer
      - .actual_access:  read_only
        .address_space:  global
        .offset:         24
        .size:           8
        .value_kind:     global_buffer
      - .actual_access:  read_only
        .address_space:  global
        .offset:         32
        .size:           8
        .value_kind:     global_buffer
      - .offset:         40
        .size:           8
        .value_kind:     by_value
      - .actual_access:  read_only
        .address_space:  global
        .offset:         48
        .size:           8
        .value_kind:     global_buffer
      - .actual_access:  read_only
        .address_space:  global
        .offset:         56
        .size:           8
        .value_kind:     global_buffer
      - .offset:         64
        .size:           4
        .value_kind:     by_value
      - .actual_access:  read_only
        .address_space:  global
        .offset:         72
        .size:           8
        .value_kind:     global_buffer
      - .actual_access:  read_only
        .address_space:  global
        .offset:         80
        .size:           8
        .value_kind:     global_buffer
      - .actual_access:  read_only
        .address_space:  global
        .offset:         88
        .size:           8
        .value_kind:     global_buffer
      - .actual_access:  write_only
        .address_space:  global
        .offset:         96
        .size:           8
        .value_kind:     global_buffer
    .group_segment_fixed_size: 0
    .kernarg_segment_align: 8
    .kernarg_segment_size: 104
    .language:       OpenCL C
    .language_version:
      - 2
      - 0
    .max_flat_workgroup_size: 102
    .name:           fft_rtc_back_len1632_factors_17_2_2_3_8_wgs_102_tpt_102_halfLds_half_op_CI_CI_unitstride_sbrr_dirReg
    .private_segment_fixed_size: 0
    .sgpr_count:     29
    .sgpr_spill_count: 0
    .symbol:         fft_rtc_back_len1632_factors_17_2_2_3_8_wgs_102_tpt_102_halfLds_half_op_CI_CI_unitstride_sbrr_dirReg.kd
    .uniform_work_group_size: 1
    .uses_dynamic_stack: false
    .vgpr_count:     100
    .vgpr_spill_count: 0
    .wavefront_size: 32
    .workgroup_processor_mode: 1
amdhsa.target:   amdgcn-amd-amdhsa--gfx1030
amdhsa.version:
  - 1
  - 2
...

	.end_amdgpu_metadata
